;; amdgpu-corpus repo=ROCm/aiter kind=harvested arch=n/a opt=n/a

/root/src/amdgpu-assembly/repos/ROCm__aiter/hsa/gfx950/pa/pa_bf16_noquant_gqa8_1tg_4w_mtp_msk0.co:	file format elf64-amdgpu

Disassembly of section .text:

0000000000002200 <_ZN5aiter36pa_bf16_noquant_gqa8_1tg_4w_mtp_msk0E>:
	s_and_b32 s1, s1, 0xffff                                   // 000000002200: 8601FF01 0000FFFF
	s_load_dwordx2 s[8:9], s[0:1], 0x0                         // 000000002208: C0060200 00000000
	s_load_dwordx2 s[12:13], s[0:1], 0x10                      // 000000002210: C0060300 00000010
	s_load_dwordx2 s[16:17], s[0:1], 0x20                      // 000000002218: C0060400 00000020
	s_load_dwordx2 s[20:21], s[0:1], 0x30                      // 000000002220: C0060500 00000030
	s_load_dwordx2 s[24:25], s[0:1], 0x40                      // 000000002228: C0060600 00000040
	s_load_dwordx2 s[28:29], s[0:1], 0x50                      // 000000002230: C0060700 00000050
	s_load_dword s64, s[0:1], 0x80                             // 000000002238: C0021000 00000080
	s_load_dword s65, s[0:1], 0x90                             // 000000002240: C0021040 00000090
	s_load_dword s66, s[0:1], 0xa0                             // 000000002248: C0021080 000000A0
	s_load_dword s74, s[0:1], 0xb0                             // 000000002250: C0021280 000000B0
	s_load_dword s68, s[0:1], 0xc0                             // 000000002258: C0021100 000000C0
	s_load_dword s69, s[0:1], 0xd0                             // 000000002260: C0021140 000000D0
	s_load_dword s77, s[0:1], 0xe0                             // 000000002268: C0021340 000000E0
	s_load_dwordx2 s[80:81], s[0:1], 0xf0                      // 000000002270: C0061400 000000F0
	v_lshrrev_b32_e32 v1, 10, v0                               // 000000002278: 2002008A
	v_lshrrev_b32_e32 v2, 10, v1                               // 00000000227C: 2004028A
	v_and_b32_e32 v2, 0x3ff, v2                                // 000000002280: 260404FF 000003FF
	v_and_b32_e32 v1, 0x3ff, v1                                // 000000002288: 260202FF 000003FF
	v_and_b32_e32 v0, 0x3ff, v0                                // 000000002290: 260000FF 000003FF
	v_lshrrev_b32_e32 v3, 6, v0                                // 000000002298: 20060086
	v_and_b32_e32 v0, 63, v0                                   // 00000000229C: 260000BF
	s_mov_b32 s2, s2                                           // 0000000022A0: BE820002
	s_mov_b32 s3, s3                                           // 0000000022A4: BE830003
	s_mov_b32 s4, s4                                           // 0000000022A8: BE840004
	v_readfirstlane_b32 s7, v3                                 // 0000000022AC: 7E0E0503
	s_waitcnt lgkmcnt(0)                                       // 0000000022B0: BF8CC07F
	s_mul_i32 s67, 0x100, s77                                  // 0000000022B4: 92434DFF 00000100
	s_mul_i32 s76, 0x100, s77                                  // 0000000022BC: 924C4DFF 00000100
	s_mul_i32 s75, s66, s76                                    // 0000000022C4: 924B4C42
	s_mul_i32 s60, s3, 4                                       // 0000000022C8: 923C8403
	s_and_b32 s29, s29, 0xffff                                 // 0000000022CC: 861DFF1D 0000FFFF
	s_add_u32 s28, s60, s28                                    // 0000000022D4: 801C1C3C
	s_addc_u32 s29, 0, s29                                     // 0000000022D8: 821D1D80
	s_load_dword s72, s[28:29], 0x0                            // 0000000022DC: C002120E 00000000
	s_mul_i32 s60, s3, 4                                       // 0000000022E4: 923C8403
	s_and_b32 s81, s81, 0xffff                                 // 0000000022E8: 8651FF51 0000FFFF
	s_add_u32 s80, s60, s80                                    // 0000000022F0: 8050503C
	s_addc_u32 s81, 0, s81                                     // 0000000022F4: 82515180
	s_load_dword s84, s[80:81], 0x0                            // 0000000022F8: C0021528 00000000
	s_load_dword s85, s[80:81], 0x4                            // 000000002300: C0021568 00000004
	s_mov_b32 s10, s76                                         // 000000002308: BE8A004C
	s_mov_b32 s14, s67                                         // 00000000230C: BE8E0043
	s_mul_i32 s60, 4, s65                                      // 000000002310: 923C4184
	s_mov_b32 s26, s60                                         // 000000002314: BE9A003C
	s_mov_b32 s18, 0x80000000                                  // 000000002318: BE9200FF 80000000
	s_mov_b32 s22, 0x80000000                                  // 000000002320: BE9600FF 80000000
	s_mov_b32 s11, 0x20000                                     // 000000002328: BE8B00FF 00020000
	s_mov_b32 s15, 0x20000                                     // 000000002330: BE8F00FF 00020000
	s_mov_b32 s19, 0x20000                                     // 000000002338: BE9300FF 00020000
	s_mov_b32 s23, 0x20000                                     // 000000002340: BE9700FF 00020000
	s_mov_b32 s27, 0x20000                                     // 000000002348: BE9B00FF 00020000
	s_and_b32 s9, s9, 0xffff                                   // 000000002350: 8609FF09 0000FFFF
	s_and_b32 s13, s13, 0xffff                                 // 000000002358: 860DFF0D 0000FFFF
	s_and_b32 s17, s17, 0xffff                                 // 000000002360: 8611FF11 0000FFFF
	s_and_b32 s21, s21, 0xffff                                 // 000000002368: 8615FF15 0000FFFF
	s_and_b32 s25, s25, 0xffff                                 // 000000002370: 8619FF19 0000FFFF
	s_or_b32 s9, s9, 0x40000                                   // 000000002378: 8709FF09 00040000
	s_or_b32 s13, s13, 0x40000                                 // 000000002380: 870DFF0D 00040000
	s_or_b32 s17, s17, 0x40000                                 // 000000002388: 8711FF11 00040000
	s_or_b32 s21, s21, 0x40000                                 // 000000002390: 8715FF15 00040000
	s_or_b32 s25, s25, 0x40000                                 // 000000002398: 8719FF19 00040000
	v_accvgpr_write_b32 a255, 0                                // 0000000023A0: D3D940FF 18000080
	v_mov_b32_e32 v207, 0                                      // 0000000023A8: 7F9E0280
	s_mov_b32 s88, 0                                           // 0000000023AC: BED80080
	s_waitcnt lgkmcnt(0)                                       // 0000000023B0: BF8CC07F
	s_sub_u32 s86, s85, s84                                    // 0000000023B4: 80D65455
	s_mov_b32 s60, 2                                           // 0000000023B8: BEBC0082
	s_cmp_eq_i32 s60, s86                                      // 0000000023BC: BF00563C
	s_cbranch_scc1 label_0FBD                                  // 0000000023C0: BF850F4B
	s_mov_b32 s60, 3                                           // 0000000023C4: BEBC0083
	s_cmp_eq_i32 s60, s86                                      // 0000000023C8: BF00563C
	s_cbranch_scc1 label_1E9D                                  // 0000000023CC: BF851E28
	s_mov_b32 s60, 4                                           // 0000000023D0: BEBC0084
	s_cmp_eq_i32 s60, s86                                      // 0000000023D4: BF00563C
	s_cbranch_scc1 label_1EFA                                  // 0000000023D8: BF851E82
	s_mul_i32 s60, s3, s65                                     // 0000000023DC: 923C4103
	s_mul_i32 s60, s60, 4                                      // 0000000023E0: 923C843C
	s_add_u32 s24, s60, s24                                    // 0000000023E4: 8018183C
	s_addc_u32 s25, 0, s25                                     // 0000000023E8: 82191980
	s_mov_b32 s56, 64                                          // 0000000023EC: BEB800C0
	s_waitcnt lgkmcnt(0)                                       // 0000000023F0: BF8CC07F
	s_add_u32 s73, s72, 15                                     // 0000000023F4: 80498F48
	s_lshr_b32 s73, s73, 4                                     // 0000000023F8: 8F498449
	s_mul_i32 s60, s73, 4                                      // 0000000023FC: 923C8449
	s_mov_b32 s26, s60                                         // 000000002400: BE9A003C
	v_and_b32_e32 v40, 3, v0                                   // 000000002404: 26500083
	v_cmp_eq_u32_e64 s[60:61], 0, v40                          // 000000002408: D0CA003C 00025080
	v_and_b32_e32 v39, 12, v0                                  // 000000002410: 264E008C
	v_add_u32_e32 v1, s7, v39                                  // 000000002414: 68024E07
	v_cndmask_b32_e64 v1, 0, v1, s[60:61]                      // 000000002418: D1000001 00F20280
	v_and_b32_e32 v40, 3, v0                                   // 000000002420: 26500083
	v_cmp_eq_u32_e64 s[60:61], 0, v40                          // 000000002424: D0CA003C 00025080
	v_lshrrev_b32_e32 v39, 5, v0                               // 00000000242C: 204E0085
	v_and_b32_e32 v40, 14, v0                                  // 000000002430: 2650008E
	v_add_u32_e32 v39, v40, v39                                // 000000002434: 684E4F28
	v_cndmask_b32_e64 v39, v39, 0, s[60:61]                    // 000000002438: D1000027 00F10127
	v_add_u32_e32 v1, v1, v39                                  // 000000002440: 68024F01
	v_lshlrev_b32_e32 v1, 2, v1                                // 000000002444: 24020282
	v_writelane_b32 v1, 56, 7                                  // 000000002448: D28A0001 00010EB8
	v_writelane_b32 v1, 56, 23                                 // 000000002450: D28A0001 00012EB8
	v_writelane_b32 v1, 60, 39                                 // 000000002458: D28A0001 00014EBC
	v_writelane_b32 v1, 60, 55                                 // 000000002460: D28A0001 00016EBC
	buffer_load_dword v17, v1, s[24:27], 0 offen               // 000000002468: E0501000 80061101
	v_add_u32_e32 v1, s56, v1                                  // 000000002470: 68020238
	buffer_load_dword v18, v1, s[24:27], 0 offen               // 000000002474: E0501000 80061201
	s_cmp_le_u32 s73, 32                                       // 00000000247C: BF0BA049
	s_cselect_b32 s56, 0, s56                                  // 000000002480: 85383880
	s_mul_i32 s61, s2, s67                                     // 000000002484: 923D4302
	s_mul_i32 s60, s84, s74                                    // 000000002488: 923C4A54
	s_add_u32 s60, s60, s61                                    // 00000000248C: 803C3D3C
	s_add_u32 s12, s60, s12                                    // 000000002490: 800C0C3C
	s_addc_u32 s13, 0, s13                                     // 000000002494: 820D0D80
	s_mul_i32 s60, s7, 0x420                                   // 000000002498: 923CFF07 00000420
	s_add_u32 m0, 0, s60                                       // 0000000024A0: 807C3C80
	s_mul_i32 s60, s7, 0x100                                   // 0000000024A4: 923CFF07 00000100
	v_lshlrev_b32_e32 v39, 2, v0                               // 0000000024AC: 244E0082
	v_add_u32_e64 v39, v39, s60                                // 0000000024B0: D1340027 00007927
	buffer_load_dword v39, s[12:15], 0 offen lds               // 0000000024B8: E0511000 80030027
	s_add_u32 m0, m0, 0x100                                    // 0000000024C0: 807CFF7C 00000100
	v_add_u32_e32 v39, 0x400, v39                              // 0000000024C8: 684E4EFF 00000400
	buffer_load_dword v39, s[12:15], 0 offen lds               // 0000000024D0: E0511000 80030027
	s_add_u32 m0, m0, 0x100                                    // 0000000024D8: 807CFF7C 00000100
	v_add_u32_e32 v39, 0x400, v39                              // 0000000024E0: 684E4EFF 00000400
	s_mul_i32 s60, s7, 0x420                                   // 0000000024E8: 923CFF07 00000420
	v_lshlrev_b32_e32 v39, 2, v0                               // 0000000024F0: 244E0082
	v_add_u32_e64 v39, v39, s60                                // 0000000024F4: D1340027 00007927
	v_mov_b32_e32 v40, 0                                       // 0000000024FC: 7E500280
	ds_write_b32 v39, v40 offset:512                           // 000000002500: D81A0200 00002827
	ds_write_b32 v39, v40 offset:768                           // 000000002508: D81A0300 00002827
	s_mul_i32 s61, s2, s76                                     // 000000002510: 923D4C02
	s_mul_i32 s60, s84, s75                                    // 000000002514: 923C4B54
	s_add_u32 s60, s60, s61                                    // 000000002518: 803C3D3C
	s_add_u32 s8, s60, s8                                      // 00000000251C: 8008083C
	s_addc_u32 s9, 0, s9                                       // 000000002520: 82090980
	s_mul_i32 s60, s7, 0x100                                   // 000000002524: 923CFF07 00000100
	v_lshlrev_b32_e32 v8, 2, v0                                // 00000000252C: 24100082
	v_add_u32_e64 v8, v8, s60                                  // 000000002530: D1340008 00007908
	s_mov_b32 s70, 0                                           // 000000002538: BEC60080
	s_and_b32 s71, s72, 0xffffff00                             // 00000000253C: 8647FF48 FFFFFF00
	v_mov_b32_e32 v54, s68                                     // 000000002544: 7E6C0244
	v_mov_b32_e32 v9, -1                                       // 000000002548: 7E1202C1
	s_mov_b32 s52, 0x7060302                                   // 00000000254C: BEB400FF 07060302
	s_mov_b32 s53, 0x400                                       // 000000002554: BEB500FF 00000400
	s_mov_b32 s54, 0x40100                                     // 00000000255C: BEB600FF 00040100
	s_mov_b32 s55, 0x4020100                                   // 000000002564: BEB700FF 04020100
	v_mov_b32_dpp v9, v9 row_shl:8 row_mask:0xf bank_mask:0xf bound_ctrl:1// 00000000256C: 7E1202FA FF090809
	s_mov_b32 s6, 0x3fb8aa3b                                   // 000000002574: BE8600FF 3FB8AA3B
	v_mov_b32_e32 v14, 0xff800000                              // 00000000257C: 7E1C02FF FF800000
	v_mov_b32_e32 v55, 0xff800000                              // 000000002584: 7E6E02FF FF800000
	v_mov_b32_e32 v51, 0                                       // 00000000258C: 7E660280
	v_mov_b32_e32 v43, 0                                       // 000000002590: 7E560280
	v_mov_b32_e32 v20, 0xffff0000                              // 000000002594: 7E2802FF FFFF0000
	v_mov_b32_e32 v21, 0x7fff0000                              // 00000000259C: 7E2A02FF 7FFF0000
	v_mov_b32_e32 v22, 0x7fff                                  // 0000000025A4: 7E2C02FF 00007FFF
	v_add_u32_e32 v1, s56, v1                                  // 0000000025AC: 68020238
	v_and_b32_e32 v10, 15, v0                                  // 0000000025B0: 2614008F
	v_lshlrev_b32_e32 v10, 2, v10                              // 0000000025B4: 24141482
	v_lshlrev_b32_e32 v11, 2, v0                               // 0000000025B8: 24160082
	s_mul_i32 s60, 0x100, s7                                   // 0000000025BC: 923C07FF 00000100
	v_add_u32_e32 v11, s60, v11                                // 0000000025C4: 6816163C
	v_lshrrev_b32_e32 v39, 4, v0                               // 0000000025C8: 204E0084
	v_lshlrev_b32_e32 v40, 6, v39                              // 0000000025CC: 24504E86
	v_and_b32_e32 v39, 15, v0                                  // 0000000025D0: 264E008F
	v_lshlrev_b32_e32 v39, 1, v39                              // 0000000025D4: 244E4E81
	v_add_u32_e32 v40, v39, v40                                // 0000000025D8: 68505127
	v_lshlrev_b32_e32 v12, 2, v40                              // 0000000025DC: 24185082
	v_lshlrev_b32_e32 v39, 3, v0                               // 0000000025E0: 244E0083
	s_mul_i32 s60, 0x200, s7                                   // 0000000025E4: 923C07FF 00000200
	v_add_u32_e64 v13, v39, s60                                // 0000000025EC: D134000D 00007927
	v_lshlrev_b32_e32 v6, 4, v0                                // 0000000025F4: 240C0084
	s_mul_i32 s60, s2, s69                                     // 0000000025F8: 923C4502
	s_add_u32 s16, s60, s16                                    // 0000000025FC: 8010103C
	s_addc_u32 s17, 0, s17                                     // 000000002600: 82111180
	v_and_b32_e32 v39, 15, v0                                  // 000000002604: 264E008F
	v_lshlrev_b32_e32 v7, 4, v39                               // 000000002608: 240E4E84
	v_and_b32_e32 v39, 31, v0                                  // 00000000260C: 264E009F
	v_lshrrev_b32_e32 v39, 4, v39                              // 000000002610: 204E4E84
	v_mul_i32_i24_e32 v39, 0x800, v39                          // 000000002614: 0C4E4EFF 00000800
	v_add_u32_e32 v7, v39, v7                                  // 00000000261C: 680E0F27
	s_mul_i32 s61, s2, s69                                     // 000000002620: 923D4502
	s_mul_i32 s60, s7, 0x100                                   // 000000002624: 923CFF07 00000100
	s_add_u32 s60, s60, s61                                    // 00000000262C: 803C3D3C
	s_add_u32 s20, s60, s20                                    // 000000002630: 8014143C
	s_addc_u32 s21, 0, s21                                     // 000000002634: 82151580
	s_waitcnt vmcnt(2)                                         // 000000002638: BF8C0F72
	v_mul_u32_u24_dpp v39, v17, v54 row_newbcast:0 row_mask:0xf bank_mask:0xf// 00000000263C: 104E6CFA FF015011
	v_mul_u32_u24_dpp v40, v17, v54 row_newbcast:4 row_mask:0xf bank_mask:0xf// 000000002644: 10506CFA FF015411
	v_mul_u32_u24_dpp v41, v17, v54 row_newbcast:8 row_mask:0xf bank_mask:0xf// 00000000264C: 10526CFA FF015811
	v_mul_u32_u24_dpp v42, v17, v54 row_newbcast:12 row_mask:0xf bank_mask:0xf// 000000002654: 10546CFA FF015C11
	v_add_u32_e32 v23, v39, v6                                 // 00000000265C: 682E0D27
	v_add_u32_e32 v24, v40, v6                                 // 000000002660: 68300D28
	v_add_u32_e32 v25, v41, v6                                 // 000000002664: 68320D29
	v_add_u32_e32 v26, v42, v6                                 // 000000002668: 68340D2A
	v_mul_u32_u24_dpp v39, v17, v54 row_newbcast:1 row_mask:0xf bank_mask:0xf// 00000000266C: 104E6CFA FF015111
	v_mul_u32_u24_dpp v40, v17, v54 row_newbcast:2 row_mask:0xf bank_mask:0xf// 000000002674: 10506CFA FF015211
	v_mul_u32_u24_dpp v41, v17, v54 row_newbcast:5 row_mask:0xf bank_mask:0xf// 00000000267C: 10526CFA FF015511
	v_mul_u32_u24_dpp v42, v17, v54 row_newbcast:6 row_mask:0xf bank_mask:0xf// 000000002684: 10546CFA FF015611
	v_add_u32_e32 v192, v39, v7                                // 00000000268C: 69800F27
	v_add_u32_e32 v193, v40, v7                                // 000000002690: 69820F28
	v_add_u32_e32 v194, v41, v7                                // 000000002694: 69840F29
	v_add_u32_e32 v195, v42, v7                                // 000000002698: 69860F2A
	v_mul_u32_u24_dpp v39, v17, v54 row_newbcast:9 row_mask:0xf bank_mask:0xf// 00000000269C: 104E6CFA FF015911
	v_mul_u32_u24_dpp v40, v17, v54 row_newbcast:10 row_mask:0xf bank_mask:0xf// 0000000026A4: 10506CFA FF015A11
	v_mul_u32_u24_dpp v41, v17, v54 row_newbcast:13 row_mask:0xf bank_mask:0xf// 0000000026AC: 10526CFA FF015D11
	v_mul_u32_u24_dpp v42, v17, v54 row_newbcast:7 row_mask:0xf bank_mask:0xf// 0000000026B4: 10546CFA FF015711
	v_add_u32_e32 v196, v39, v7                                // 0000000026BC: 69880F27
	v_add_u32_e32 v197, v40, v7                                // 0000000026C0: 698A0F28
	v_add_u32_e32 v198, v41, v7                                // 0000000026C4: 698C0F29
	v_add_u32_e32 v199, v42, v7                                // 0000000026C8: 698E0F2A
	buffer_load_dwordx4 a[0:3], v23, s[16:19], 0 offen         // 0000000026CC: E05C1000 80840017
	buffer_load_dwordx4 a[4:7], v23, s[16:19], 0 offen offset:1024// 0000000026D4: E05C1400 80840417
	buffer_load_dwordx4 a[8:11], v23, s[16:19], 0 offen offset:2048// 0000000026DC: E05C1800 80840817
	buffer_load_dwordx4 a[12:15], v23, s[16:19], 0 offen offset:3072// 0000000026E4: E05C1C00 80840C17
	buffer_load_dwordx4 a[16:19], v24, s[16:19], 0 offen       // 0000000026EC: E05C1000 80841018
	buffer_load_dwordx4 a[20:23], v24, s[16:19], 0 offen offset:1024// 0000000026F4: E05C1400 80841418
	buffer_load_dwordx4 a[24:27], v24, s[16:19], 0 offen offset:2048// 0000000026FC: E05C1800 80841818
	buffer_load_dwordx4 a[28:31], v24, s[16:19], 0 offen offset:3072// 000000002704: E05C1C00 80841C18
	buffer_load_dwordx4 a[32:35], v25, s[16:19], 0 offen       // 00000000270C: E05C1000 80842019
	buffer_load_dwordx4 a[36:39], v25, s[16:19], 0 offen offset:1024// 000000002714: E05C1400 80842419
	buffer_load_dwordx4 a[40:43], v25, s[16:19], 0 offen offset:2048// 00000000271C: E05C1800 80842819
	buffer_load_dwordx4 a[44:47], v25, s[16:19], 0 offen offset:3072// 000000002724: E05C1C00 80842C19
	buffer_load_dwordx4 a[48:51], v26, s[16:19], 0 offen       // 00000000272C: E05C1000 8084301A
	buffer_load_dwordx4 a[52:55], v26, s[16:19], 0 offen offset:1024// 000000002734: E05C1400 8084341A
	buffer_load_dwordx4 a[56:59], v26, s[16:19], 0 offen offset:2048// 00000000273C: E05C1800 8084381A
	buffer_load_dwordx4 a[60:63], v26, s[16:19], 0 offen offset:3072// 000000002744: E05C1C00 80843C1A
	buffer_load_dwordx4 a[128:131], v192, s[20:23], 0 offen    // 00000000274C: E05C1000 808580C0
	buffer_load_dwordx4 a[132:135], v193, s[20:23], 0 offen    // 000000002754: E05C1000 808584C1
	buffer_load_dwordx4 a[136:139], v194, s[20:23], 0 offen    // 00000000275C: E05C1000 808588C2
	buffer_load_dwordx4 a[140:143], v195, s[20:23], 0 offen    // 000000002764: E05C1000 80858CC3
	buffer_load_dwordx4 a[144:147], v196, s[20:23], 0 offen    // 00000000276C: E05C1000 808590C4
	buffer_load_dwordx4 a[148:151], v197, s[20:23], 0 offen    // 000000002774: E05C1000 808594C5
	buffer_load_dwordx4 a[152:155], v198, s[20:23], 0 offen    // 00000000277C: E05C1000 808598C6
	buffer_load_dwordx4 a[156:159], v199, s[20:23], 0 offen    // 000000002784: E05C1000 80859CC7
	buffer_load_dwordx4 a[160:163], v192, s[20:23], 0 offen offset:1024// 00000000278C: E05C1400 8085A0C0
	buffer_load_dwordx4 a[164:167], v193, s[20:23], 0 offen offset:1024// 000000002794: E05C1400 8085A4C1
	buffer_load_dwordx4 a[168:171], v194, s[20:23], 0 offen offset:1024// 00000000279C: E05C1400 8085A8C2
	buffer_load_dwordx4 a[172:175], v195, s[20:23], 0 offen offset:1024// 0000000027A4: E05C1400 8085ACC3
	buffer_load_dwordx4 a[176:179], v196, s[20:23], 0 offen offset:1024// 0000000027AC: E05C1400 8085B0C4
	buffer_load_dwordx4 a[180:183], v197, s[20:23], 0 offen offset:1024// 0000000027B4: E05C1400 8085B4C5
	buffer_load_dwordx4 a[184:187], v198, s[20:23], 0 offen offset:1024// 0000000027BC: E05C1400 8085B8C6
	buffer_load_dwordx4 a[188:191], v199, s[20:23], 0 offen offset:1024// 0000000027C4: E05C1400 8085BCC7
	v_lshrrev_b32_e32 v39, 4, v0                               // 0000000027CC: 204E0084
	v_lshlrev_b32_e32 v40, 2, v39                              // 0000000027D0: 24504E82
	v_and_b32_e32 v39, 15, v0                                  // 0000000027D4: 264E008F
	v_lshrrev_b32_e32 v41, 2, v39                              // 0000000027D8: 20524E82
	v_lshlrev_b32_e32 v41, 6, v41                              // 0000000027DC: 24525286
	v_add_u32_e32 v40, v41, v40                                // 0000000027E0: 68505129
	v_and_b32_e32 v39, 3, v0                                   // 0000000027E4: 264E0083
	v_mul_i32_i24_e32 v41, 0x108, v39                          // 0000000027E8: 0C524EFF 00000108
	v_add_u32_e32 v40, v41, v40                                // 0000000027F0: 68505129
	v_lshlrev_b32_e32 v4, 2, v40                               // 0000000027F4: 24085082
	s_waitcnt vmcnt(32) lgkmcnt(0)                             // 0000000027F8: BF8C8070
	s_barrier                                                  // 0000000027FC: BF8A0000
	ds_read_b128 v[80:83], v4                                  // 000000002800: D9FE0000 50000004
	ds_read_b128 v[84:87], v4 offset:64                        // 000000002808: D9FE0040 54000004
	ds_read_b128 v[88:91], v4 offset:128                       // 000000002810: D9FE0080 58000004
	ds_read_b128 v[92:95], v4 offset:192                       // 000000002818: D9FE00C0 5C000004
	v_mov_b32_e32 v176, 0                                      // 000000002820: 7F600280
	v_mov_b32_e32 v177, 0                                      // 000000002824: 7F620280
	v_mov_b32_e32 v178, 0                                      // 000000002828: 7F640280
	v_mov_b32_e32 v179, 0                                      // 00000000282C: 7F660280
	v_mov_b32_e32 v180, 0                                      // 000000002830: 7F680280
	v_mov_b32_e32 v181, 0                                      // 000000002834: 7F6A0280
	v_mov_b32_e32 v182, 0                                      // 000000002838: 7F6C0280
	v_mov_b32_e32 v183, 0                                      // 00000000283C: 7F6E0280
	s_waitcnt vmcnt(16) lgkmcnt(0)                             // 000000002840: BF8C4070
	s_barrier                                                  // 000000002844: BF8A0000
	v_mul_u32_u24_dpp v39, v18, v54 row_newbcast:0 row_mask:0xf bank_mask:0xf// 000000002848: 104E6CFA FF015012
	v_mul_u32_u24_dpp v40, v18, v54 row_newbcast:4 row_mask:0xf bank_mask:0xf// 000000002850: 10506CFA FF015412
	v_mul_u32_u24_dpp v41, v18, v54 row_newbcast:8 row_mask:0xf bank_mask:0xf// 000000002858: 10526CFA FF015812
	v_mul_u32_u24_dpp v42, v18, v54 row_newbcast:12 row_mask:0xf bank_mask:0xf// 000000002860: 10546CFA FF015C12
	v_add_u32_e32 v27, v39, v6                                 // 000000002868: 68360D27
	v_add_u32_e32 v28, v40, v6                                 // 00000000286C: 68380D28
	v_add_u32_e32 v29, v41, v6                                 // 000000002870: 683A0D29
	v_add_u32_e32 v30, v42, v6                                 // 000000002874: 683C0D2A
	v_mul_u32_u24_dpp v39, v18, v54 row_newbcast:1 row_mask:0xf bank_mask:0xf// 000000002878: 104E6CFA FF015112
	v_mul_u32_u24_dpp v40, v18, v54 row_newbcast:2 row_mask:0xf bank_mask:0xf// 000000002880: 10506CFA FF015212
	v_mul_u32_u24_dpp v41, v18, v54 row_newbcast:5 row_mask:0xf bank_mask:0xf// 000000002888: 10526CFA FF015512
	v_mul_u32_u24_dpp v42, v18, v54 row_newbcast:6 row_mask:0xf bank_mask:0xf// 000000002890: 10546CFA FF015612
	v_add_u32_e32 v200, v39, v7                                // 000000002898: 69900F27
	v_add_u32_e32 v201, v40, v7                                // 00000000289C: 69920F28
	v_add_u32_e32 v202, v41, v7                                // 0000000028A0: 69940F29
	v_add_u32_e32 v203, v42, v7                                // 0000000028A4: 69960F2A
	v_mul_u32_u24_dpp v39, v18, v54 row_newbcast:9 row_mask:0xf bank_mask:0xf// 0000000028A8: 104E6CFA FF015912
	v_mul_u32_u24_dpp v40, v18, v54 row_newbcast:10 row_mask:0xf bank_mask:0xf// 0000000028B0: 10506CFA FF015A12
	v_mul_u32_u24_dpp v41, v18, v54 row_newbcast:13 row_mask:0xf bank_mask:0xf// 0000000028B8: 10526CFA FF015D12
	v_mul_u32_u24_dpp v42, v18, v54 row_newbcast:7 row_mask:0xf bank_mask:0xf// 0000000028C0: 10546CFA FF015712
	v_add_u32_e32 v204, v39, v7                                // 0000000028C8: 69980F27
	v_add_u32_e32 v205, v40, v7                                // 0000000028CC: 699A0F28
	v_add_u32_e32 v206, v41, v7                                // 0000000028D0: 699C0F29
	v_add_u32_e32 v207, v42, v7                                // 0000000028D4: 699E0F2A
	s_cmp_lt_u32 s73, 16                                       // 0000000028D8: BF0A9049
	s_cbranch_scc1 label_0B2D                                  // 0000000028DC: BF850974
	s_cmp_lt_i32 s7, 2                                         // 0000000028E0: BF048207
	s_cbranch_scc0 label_05AA                                  // 0000000028E4: BF8403F0

00000000000028e8 <label_01BA>:
	s_waitcnt vmcnt(16) lgkmcnt(0)                             // 0000000028E8: BF8C4070
	v_mfma_f32_16x16x16_bf16 v[112:115], a[0:1], v[80:81], 0   // 0000000028EC: D3E10070 0A02A100
	v_mfma_f32_16x16x16_bf16 v[112:115], a[2:3], v[82:83], v[112:115]// 0000000028F4: D3E10070 0DC2A502
	buffer_load_dwordx4 a[64:67], v27, s[16:19], 0 offen       // 0000000028FC: E05C1000 8084401B
	v_mfma_f32_16x16x16_bf16 v[112:115], a[4:5], v[84:85], v[112:115]// 000000002904: D3E10070 0DC2A904
	v_mfma_f32_16x16x16_bf16 v[112:115], a[6:7], v[86:87], v[112:115]// 00000000290C: D3E10070 0DC2AD06
	buffer_load_dword v17, v1, s[24:27], 0 offen               // 000000002914: E0501000 80061101
	v_mfma_f32_16x16x16_bf16 v[112:115], a[8:9], v[88:89], v[112:115]// 00000000291C: D3E10070 0DC2B108
	v_mfma_f32_16x16x16_bf16 v[112:115], a[10:11], v[90:91], v[112:115]// 000000002924: D3E10070 0DC2B50A
	buffer_load_dwordx4 a[68:71], v27, s[16:19], 0 offen offset:1024// 00000000292C: E05C1400 8084441B
	v_mfma_f32_16x16x16_bf16 v[112:115], a[12:13], v[92:93], v[112:115]// 000000002934: D3E10070 0DC2B90C
	v_mfma_f32_16x16x16_bf16 v[112:115], a[14:15], v[94:95], v[112:115]// 00000000293C: D3E10070 0DC2BD0E
	v_mfma_f32_16x16x16_bf16 v[116:119], a[16:17], v[80:81], 0 // 000000002944: D3E10074 0A02A110
	v_mfma_f32_16x16x16_bf16 v[116:119], a[18:19], v[82:83], v[116:119]// 00000000294C: D3E10074 0DD2A512
	buffer_load_dwordx4 a[72:75], v27, s[16:19], 0 offen offset:2048// 000000002954: E05C1800 8084481B
	v_mfma_f32_16x16x16_bf16 v[116:119], a[20:21], v[84:85], v[116:119]// 00000000295C: D3E10074 0DD2A914
	v_mfma_f32_16x16x16_bf16 v[116:119], a[22:23], v[86:87], v[116:119]// 000000002964: D3E10074 0DD2AD16
	v_mfma_f32_16x16x16_bf16 v[116:119], a[24:25], v[88:89], v[116:119]// 00000000296C: D3E10074 0DD2B118
	v_mfma_f32_16x16x16_bf16 v[116:119], a[26:27], v[90:91], v[116:119]// 000000002974: D3E10074 0DD2B51A
	buffer_load_dwordx4 a[76:79], v27, s[16:19], 0 offen offset:3072// 00000000297C: E05C1C00 80844C1B
	v_mfma_f32_16x16x16_bf16 v[116:119], a[28:29], v[92:93], v[116:119]// 000000002984: D3E10074 0DD2B91C
	v_mfma_f32_16x16x16_bf16 v[116:119], a[30:31], v[94:95], v[116:119]// 00000000298C: D3E10074 0DD2BD1E
	v_mfma_f32_16x16x16_bf16 v[120:123], a[32:33], v[80:81], 0 // 000000002994: D3E10078 0A02A120
	v_mfma_f32_16x16x16_bf16 v[120:123], a[34:35], v[82:83], v[120:123]// 00000000299C: D3E10078 0DE2A522
	buffer_load_dwordx4 a[80:83], v28, s[16:19], 0 offen       // 0000000029A4: E05C1000 8084501C
	v_mfma_f32_16x16x16_bf16 v[120:123], a[36:37], v[84:85], v[120:123]// 0000000029AC: D3E10078 0DE2A924
	v_mfma_f32_16x16x16_bf16 v[120:123], a[38:39], v[86:87], v[120:123]// 0000000029B4: D3E10078 0DE2AD26
	v_mfma_f32_16x16x16_bf16 v[120:123], a[40:41], v[88:89], v[120:123]// 0000000029BC: D3E10078 0DE2B128
	v_mfma_f32_16x16x16_bf16 v[120:123], a[42:43], v[90:91], v[120:123]// 0000000029C4: D3E10078 0DE2B52A
	buffer_load_dwordx4 a[84:87], v28, s[16:19], 0 offen offset:1024// 0000000029CC: E05C1400 8084541C
	v_mfma_f32_16x16x16_bf16 v[120:123], a[44:45], v[92:93], v[120:123]// 0000000029D4: D3E10078 0DE2B92C
	v_mfma_f32_16x16x16_bf16 v[120:123], a[46:47], v[94:95], v[120:123]// 0000000029DC: D3E10078 0DE2BD2E
	v_mfma_f32_16x16x16_bf16 v[124:127], a[48:49], v[80:81], 0 // 0000000029E4: D3E1007C 0A02A130
	v_mfma_f32_16x16x16_bf16 v[124:127], a[50:51], v[82:83], v[124:127]// 0000000029EC: D3E1007C 0DF2A532
	buffer_load_dwordx4 a[88:91], v28, s[16:19], 0 offen offset:2048// 0000000029F4: E05C1800 8084581C
	v_mfma_f32_16x16x16_bf16 v[124:127], a[52:53], v[84:85], v[124:127]// 0000000029FC: D3E1007C 0DF2A934
	v_mfma_f32_16x16x16_bf16 v[124:127], a[54:55], v[86:87], v[124:127]// 000000002A04: D3E1007C 0DF2AD36
	v_mfma_f32_16x16x16_bf16 v[124:127], a[56:57], v[88:89], v[124:127]// 000000002A0C: D3E1007C 0DF2B138
	v_mfma_f32_16x16x16_bf16 v[124:127], a[58:59], v[90:91], v[124:127]// 000000002A14: D3E1007C 0DF2B53A
	buffer_load_dwordx4 a[92:95], v28, s[16:19], 0 offen offset:3072// 000000002A1C: E05C1C00 80845C1C
	v_mfma_f32_16x16x16_bf16 v[124:127], a[60:61], v[92:93], v[124:127]// 000000002A24: D3E1007C 0DF2B93C
	v_mfma_f32_16x16x16_bf16 v[124:127], a[62:63], v[94:95], v[124:127]// 000000002A2C: D3E1007C 0DF2BD3E
	buffer_load_dwordx4 a[96:99], v29, s[16:19], 0 offen       // 000000002A34: E05C1000 8084601D
	s_nop 8                                                    // 000000002A3C: BF800008
	v_or_b32_dpp v112, v120, v112 row_shr:8 row_mask:0xf bank_mask:0xf bound_ctrl:1// 000000002A40: 28E0E0FA FF091878
	v_or_b32_dpp v113, v121, v113 row_shr:8 row_mask:0xf bank_mask:0xf bound_ctrl:1// 000000002A48: 28E2E2FA FF091879
	v_or_b32_dpp v114, v122, v114 row_shr:8 row_mask:0xf bank_mask:0xf bound_ctrl:1// 000000002A50: 28E4E4FA FF09187A
	v_or_b32_dpp v115, v123, v115 row_shr:8 row_mask:0xf bank_mask:0xf bound_ctrl:1// 000000002A58: 28E6E6FA FF09187B
	v_or_b32_dpp v116, v124, v116 row_shr:8 row_mask:0xf bank_mask:0xf bound_ctrl:1// 000000002A60: 28E8E8FA FF09187C
	v_or_b32_dpp v117, v125, v117 row_shr:8 row_mask:0xf bank_mask:0xf bound_ctrl:1// 000000002A68: 28EAEAFA FF09187D
	v_or_b32_dpp v118, v126, v118 row_shr:8 row_mask:0xf bank_mask:0xf bound_ctrl:1// 000000002A70: 28ECECFA FF09187E
	v_or_b32_dpp v119, v127, v119 row_shr:8 row_mask:0xf bank_mask:0xf bound_ctrl:1// 000000002A78: 28EEEEFA FF09187F
	buffer_load_dwordx4 a[100:103], v29, s[16:19], 0 offen offset:1024// 000000002A80: E05C1400 8084641D
	v_mov_b32_e32 v50, v112                                    // 000000002A88: 7E640370
	v_max3_f32 v50, v112, v113, v50                            // 000000002A8C: D1D30032 04CAE370
	v_max3_f32 v50, v114, v115, v50                            // 000000002A94: D1D30032 04CAE772
	v_max3_f32 v50, v116, v117, v50                            // 000000002A9C: D1D30032 04CAEB74
	v_max3_f32 v50, v118, v119, v50                            // 000000002AA4: D1D30032 04CAEF76
	ds_write_b32 v11, v50                                      // 000000002AAC: D81A0000 0000320B
	buffer_load_dwordx4 a[104:107], v29, s[16:19], 0 offen offset:2048// 000000002AB4: E05C1800 8084681D
	s_waitcnt lgkmcnt(0)                                       // 000000002ABC: BF8CC07F
	s_barrier                                                  // 000000002AC0: BF8A0000
	ds_read_b32 v64, v10                                       // 000000002AC4: D86C0000 4000000A
	buffer_load_dwordx4 a[108:111], v29, s[16:19], 0 offen offset:3072// 000000002ACC: E05C1C00 80846C1D
	ds_read_b32 v65, v10 offset:64                             // 000000002AD4: D86C0040 4100000A
	ds_read_b32 v66, v10 offset:128                            // 000000002ADC: D86C0080 4200000A
	ds_read_b32 v67, v10 offset:192                            // 000000002AE4: D86C00C0 4300000A
	ds_read_b32 v68, v10 offset:256                            // 000000002AEC: D86C0100 4400000A
	ds_read_b32 v69, v10 offset:320                            // 000000002AF4: D86C0140 4500000A
	ds_read_b32 v70, v10 offset:384                            // 000000002AFC: D86C0180 4600000A
	ds_read_b32 v71, v10 offset:448                            // 000000002B04: D86C01C0 4700000A
	ds_read_b32 v72, v10 offset:512                            // 000000002B0C: D86C0200 4800000A
	buffer_load_dwordx4 a[112:115], v30, s[16:19], 0 offen     // 000000002B14: E05C1000 8084701E
	ds_read_b32 v73, v10 offset:576                            // 000000002B1C: D86C0240 4900000A
	ds_read_b32 v74, v10 offset:640                            // 000000002B24: D86C0280 4A00000A
	ds_read_b32 v75, v10 offset:704                            // 000000002B2C: D86C02C0 4B00000A
	ds_read_b32 v76, v10 offset:768                            // 000000002B34: D86C0300 4C00000A
	ds_read_b32 v77, v10 offset:832                            // 000000002B3C: D86C0340 4D00000A
	ds_read_b32 v78, v10 offset:896                            // 000000002B44: D86C0380 4E00000A
	ds_read_b32 v79, v10 offset:960                            // 000000002B4C: D86C03C0 4F00000A
	buffer_load_dwordx4 a[116:119], v30, s[16:19], 0 offen offset:1024// 000000002B54: E05C1400 8084741E
	buffer_load_dwordx4 a[120:123], v30, s[16:19], 0 offen offset:2048// 000000002B5C: E05C1800 8084781E
	s_waitcnt lgkmcnt(0)                                       // 000000002B64: BF8CC07F
	v_max3_f32 v50, v64, v65, v50                              // 000000002B68: D1D30032 04CA8340
	v_max3_f32 v50, v66, v67, v50                              // 000000002B70: D1D30032 04CA8742
	v_max3_f32 v50, v68, v69, v50                              // 000000002B78: D1D30032 04CA8B44
	v_max3_f32 v50, v70, v71, v50                              // 000000002B80: D1D30032 04CA8F46
	v_max3_f32 v50, v72, v73, v50                              // 000000002B88: D1D30032 04CA9348
	v_max3_f32 v50, v74, v75, v50                              // 000000002B90: D1D30032 04CA974A
	v_max3_f32 v50, v76, v77, v50                              // 000000002B98: D1D30032 04CA9B4C
	v_max3_f32 v50, v78, v79, v50                              // 000000002BA0: D1D30032 04CA9F4E
	buffer_load_dwordx4 a[124:127], v30, s[16:19], 0 offen offset:3072// 000000002BA8: E05C1C00 80847C1E
	v_cmp_eq_u32_e64 s[40:41], v55, v14                        // 000000002BB0: D0CA0028 00021D37
	s_nop 1                                                    // 000000002BB8: BF800001
	v_mov_b32_dpp v39, v50 row_ror:8 row_mask:0xf bank_mask:0xf// 000000002BBC: 7E4E02FA FF012832
	v_max_f32_e32 v50, v50, v39                                // 000000002BC4: 16644F32
	v_max_f32_e32 v16, v50, v14                                // 000000002BC8: 16201D32
	v_sub_f32_e32 v51, v14, v16                                // 000000002BCC: 0466210E
	v_cndmask_b32_e64 v51, v51, 0, s[40:41]                    // 000000002BD0: D1000033 00A10133
	v_mov_b32_e32 v14, v16                                     // 000000002BD8: 7E1C0310
	v_mul_f32_e32 v53, s64, v16                                // 000000002BDC: 0A6A2040
	v_mul_f32_e32 v51, s64, v51                                // 000000002BE0: 0A666640
	v_exp_f32_e32 v51, v51                                     // 000000002BE4: 7E664133
	buffer_load_dwordx4 a[192:195], v200, s[20:23], 0 offen    // 000000002BE8: E05C1000 8085C0C8
	v_fma_f32 v112, v112, s64, -v53                            // 000000002BF0: D1CB0070 84D48170
	v_fma_f32 v113, v113, s64, -v53                            // 000000002BF8: D1CB0071 84D48171
	v_fma_f32 v114, v114, s64, -v53                            // 000000002C00: D1CB0072 84D48172
	v_fma_f32 v115, v115, s64, -v53                            // 000000002C08: D1CB0073 84D48173
	v_fma_f32 v116, v116, s64, -v53                            // 000000002C10: D1CB0074 84D48174
	v_fma_f32 v117, v117, s64, -v53                            // 000000002C18: D1CB0075 84D48175
	v_fma_f32 v118, v118, s64, -v53                            // 000000002C20: D1CB0076 84D48176
	v_fma_f32 v119, v119, s64, -v53                            // 000000002C28: D1CB0077 84D48177
	v_exp_f32_e32 v112, v112                                   // 000000002C30: 7EE04170
	v_exp_f32_e32 v113, v113                                   // 000000002C34: 7EE24171
	v_exp_f32_e32 v114, v114                                   // 000000002C38: 7EE44172
	v_exp_f32_e32 v115, v115                                   // 000000002C3C: 7EE64173
	v_exp_f32_e32 v116, v116                                   // 000000002C40: 7EE84174
	v_exp_f32_e32 v117, v117                                   // 000000002C44: 7EEA4175
	v_exp_f32_e32 v118, v118                                   // 000000002C48: 7EEC4176
	v_exp_f32_e32 v119, v119                                   // 000000002C4C: 7EEE4177
	buffer_load_dwordx4 a[196:199], v201, s[20:23], 0 offen    // 000000002C50: E05C1000 8085C4C9
	v_mul_f32_e32 v43, v51, v43                                // 000000002C58: 0A565733
	v_mov_b32_e32 v45, v112                                    // 000000002C5C: 7E5A0370
	v_add_f32_e32 v45, v113, v45                               // 000000002C60: 025A5B71
	v_add_f32_e32 v45, v114, v45                               // 000000002C64: 025A5B72
	v_add_f32_e32 v45, v115, v45                               // 000000002C68: 025A5B73
	v_add_f32_e32 v45, v116, v45                               // 000000002C6C: 025A5B74
	v_add_f32_e32 v45, v117, v45                               // 000000002C70: 025A5B75
	v_add_f32_e32 v45, v118, v45                               // 000000002C74: 025A5B76
	v_add_f32_e32 v45, v119, v45                               // 000000002C78: 025A5B77
	v_add_f32_e32 v43, v45, v43                                // 000000002C7C: 0256572D
	buffer_load_dwordx4 a[200:203], v202, s[20:23], 0 offen    // 000000002C80: E05C1000 8085C8CA
	v_cmp_u_f32_e64 s[40:41], v112, v112                       // 000000002C88: D0480028 0002E170
	v_add3_u32 v19, v112, v22, 1                               // 000000002C90: D1FF0013 02062D70
	v_cndmask_b32_e64 v39, v19, v21, s[40:41]                  // 000000002C98: D1000027 00A22B13
	v_cmp_u_f32_e64 s[40:41], v113, v113                       // 000000002CA0: D0480028 0002E371
	v_add3_u32 v19, v113, v22, 1                               // 000000002CA8: D1FF0013 02062D71
	v_cndmask_b32_e64 v40, v19, v21, s[40:41]                  // 000000002CB0: D1000028 00A22B13
	v_perm_b32 v112, v40, v39, s52                             // 000000002CB8: D1ED0070 00D24F28
	v_cmp_u_f32_e64 s[40:41], v114, v114                       // 000000002CC0: D0480028 0002E572
	v_add3_u32 v19, v114, v22, 1                               // 000000002CC8: D1FF0013 02062D72
	v_cndmask_b32_e64 v39, v19, v21, s[40:41]                  // 000000002CD0: D1000027 00A22B13
	v_cmp_u_f32_e64 s[40:41], v115, v115                       // 000000002CD8: D0480028 0002E773
	v_add3_u32 v19, v115, v22, 1                               // 000000002CE0: D1FF0013 02062D73
	v_cndmask_b32_e64 v40, v19, v21, s[40:41]                  // 000000002CE8: D1000028 00A22B13
	v_perm_b32 v113, v40, v39, s52                             // 000000002CF0: D1ED0071 00D24F28
	v_cmp_u_f32_e64 s[40:41], v116, v116                       // 000000002CF8: D0480028 0002E974
	v_add3_u32 v19, v116, v22, 1                               // 000000002D00: D1FF0013 02062D74
	v_cndmask_b32_e64 v39, v19, v21, s[40:41]                  // 000000002D08: D1000027 00A22B13
	v_cmp_u_f32_e64 s[40:41], v117, v117                       // 000000002D10: D0480028 0002EB75
	v_add3_u32 v19, v117, v22, 1                               // 000000002D18: D1FF0013 02062D75
	v_cndmask_b32_e64 v40, v19, v21, s[40:41]                  // 000000002D20: D1000028 00A22B13
	v_perm_b32 v114, v40, v39, s52                             // 000000002D28: D1ED0072 00D24F28
	v_cmp_u_f32_e64 s[40:41], v118, v118                       // 000000002D30: D0480028 0002ED76
	v_add3_u32 v19, v118, v22, 1                               // 000000002D38: D1FF0013 02062D76
	v_cndmask_b32_e64 v39, v19, v21, s[40:41]                  // 000000002D40: D1000027 00A22B13
	v_cmp_u_f32_e64 s[40:41], v119, v119                       // 000000002D48: D0480028 0002EF77
	v_add3_u32 v19, v119, v22, 1                               // 000000002D50: D1FF0013 02062D77
	v_cndmask_b32_e64 v40, v19, v21, s[40:41]                  // 000000002D58: D1000028 00A22B13
	v_perm_b32 v115, v40, v39, s52                             // 000000002D60: D1ED0073 00D24F28
	buffer_load_dwordx4 a[204:207], v203, s[20:23], 0 offen    // 000000002D68: E05C1000 8085CCCB
	buffer_load_dwordx4 a[208:211], v204, s[20:23], 0 offen    // 000000002D70: E05C1000 8085D0CC
	ds_write_b64 v13, v[112:113] offset:4096                   // 000000002D78: D89A1000 0000700D
	ds_write_b64 v13, v[114:115] offset:6144                   // 000000002D80: D89A1800 0000720D
	buffer_load_dwordx4 a[212:215], v205, s[20:23], 0 offen    // 000000002D88: E05C1000 8085D4CD
	s_waitcnt lgkmcnt(0)                                       // 000000002D90: BF8CC07F
	s_barrier                                                  // 000000002D94: BF8A0000
	ds_read_b64 v[112:113], v12 offset:4096                    // 000000002D98: D8EC1000 7000000C
	ds_read_b64 v[114:115], v12 offset:4224                    // 000000002DA0: D8EC1080 7200000C
	ds_read_b64 v[116:117], v12 offset:5120                    // 000000002DA8: D8EC1400 7400000C
	ds_read_b64 v[118:119], v12 offset:5248                    // 000000002DB0: D8EC1480 7600000C
	ds_read_b64 v[120:121], v12 offset:6144                    // 000000002DB8: D8EC1800 7800000C
	ds_read_b64 v[122:123], v12 offset:6272                    // 000000002DC0: D8EC1880 7A00000C
	ds_read_b64 v[124:125], v12 offset:7168                    // 000000002DC8: D8EC1C00 7C00000C
	ds_read_b64 v[126:127], v12 offset:7296                    // 000000002DD0: D8EC1C80 7E00000C
	buffer_load_dwordx4 a[216:219], v206, s[20:23], 0 offen    // 000000002DD8: E05C1000 8085D8CE
	s_waitcnt lgkmcnt(0)                                       // 000000002DE0: BF8CC07F
	v_mov_b32_dpp v128, v112 row_shl:8 row_mask:0xf bank_mask:0xf bound_ctrl:1// 000000002DE4: 7F0002FA FF090870
	v_and_b32_e32 v112, v112, v9                               // 000000002DEC: 26E01370
	v_mov_b32_dpp v129, v113 row_shl:8 row_mask:0xf bank_mask:0xf bound_ctrl:1// 000000002DF0: 7F0202FA FF090871
	v_and_b32_e32 v113, v113, v9                               // 000000002DF8: 26E21371
	v_mov_b32_dpp v130, v114 row_shl:8 row_mask:0xf bank_mask:0xf bound_ctrl:1// 000000002DFC: 7F0402FA FF090872
	v_and_b32_e32 v114, v114, v9                               // 000000002E04: 26E41372
	v_mov_b32_dpp v131, v115 row_shl:8 row_mask:0xf bank_mask:0xf bound_ctrl:1// 000000002E08: 7F0602FA FF090873
	v_and_b32_e32 v115, v115, v9                               // 000000002E10: 26E61373
	v_mov_b32_dpp v132, v116 row_shl:8 row_mask:0xf bank_mask:0xf bound_ctrl:1// 000000002E14: 7F0802FA FF090874
	v_and_b32_e32 v116, v116, v9                               // 000000002E1C: 26E81374
	v_mov_b32_dpp v133, v117 row_shl:8 row_mask:0xf bank_mask:0xf bound_ctrl:1// 000000002E20: 7F0A02FA FF090875
	v_and_b32_e32 v117, v117, v9                               // 000000002E28: 26EA1375
	v_mov_b32_dpp v134, v118 row_shl:8 row_mask:0xf bank_mask:0xf bound_ctrl:1// 000000002E2C: 7F0C02FA FF090876
	v_and_b32_e32 v118, v118, v9                               // 000000002E34: 26EC1376
	v_mov_b32_dpp v135, v119 row_shl:8 row_mask:0xf bank_mask:0xf bound_ctrl:1// 000000002E38: 7F0E02FA FF090877
	v_and_b32_e32 v119, v119, v9                               // 000000002E40: 26EE1377
	v_mov_b32_dpp v136, v120 row_shl:8 row_mask:0xf bank_mask:0xf bound_ctrl:1// 000000002E44: 7F1002FA FF090878
	v_and_b32_e32 v120, v120, v9                               // 000000002E4C: 26F01378
	v_mov_b32_dpp v137, v121 row_shl:8 row_mask:0xf bank_mask:0xf bound_ctrl:1// 000000002E50: 7F1202FA FF090879
	v_and_b32_e32 v121, v121, v9                               // 000000002E58: 26F21379
	v_mov_b32_dpp v138, v122 row_shl:8 row_mask:0xf bank_mask:0xf bound_ctrl:1// 000000002E5C: 7F1402FA FF09087A
	v_and_b32_e32 v122, v122, v9                               // 000000002E64: 26F4137A
	v_mov_b32_dpp v139, v123 row_shl:8 row_mask:0xf bank_mask:0xf bound_ctrl:1// 000000002E68: 7F1602FA FF09087B
	v_and_b32_e32 v123, v123, v9                               // 000000002E70: 26F6137B
	v_mov_b32_dpp v140, v124 row_shl:8 row_mask:0xf bank_mask:0xf bound_ctrl:1// 000000002E74: 7F1802FA FF09087C
	v_and_b32_e32 v124, v124, v9                               // 000000002E7C: 26F8137C
	v_mov_b32_dpp v141, v125 row_shl:8 row_mask:0xf bank_mask:0xf bound_ctrl:1// 000000002E80: 7F1A02FA FF09087D
	v_and_b32_e32 v125, v125, v9                               // 000000002E88: 26FA137D
	v_mov_b32_dpp v142, v126 row_shl:8 row_mask:0xf bank_mask:0xf bound_ctrl:1// 000000002E8C: 7F1C02FA FF09087E
	v_and_b32_e32 v126, v126, v9                               // 000000002E94: 26FC137E
	v_mov_b32_dpp v143, v127 row_shl:8 row_mask:0xf bank_mask:0xf bound_ctrl:1// 000000002E98: 7F1E02FA FF09087F
	v_and_b32_e32 v127, v127, v9                               // 000000002EA0: 26FE137F
	buffer_load_dwordx4 a[220:223], v207, s[20:23], 0 offen    // 000000002EA4: E05C1000 8085DCCF
	v_mul_f32_e32 v176, v51, v176                              // 000000002EAC: 0B616133
	v_mul_f32_e32 v177, v51, v177                              // 000000002EB0: 0B636333
	v_mul_f32_e32 v178, v51, v178                              // 000000002EB4: 0B656533
	v_mul_f32_e32 v179, v51, v179                              // 000000002EB8: 0B676733
	v_mul_f32_e32 v180, v51, v180                              // 000000002EBC: 0B696933
	v_mul_f32_e32 v181, v51, v181                              // 000000002EC0: 0B6B6B33
	v_mul_f32_e32 v182, v51, v182                              // 000000002EC4: 0B6D6D33
	v_mul_f32_e32 v183, v51, v183                              // 000000002EC8: 0B6F6F33
	s_waitcnt vmcnt(24)                                        // 000000002ECC: BF8C4F78
	v_mfma_f32_16x16x16_bf16 v[176:179], a[128:129], v[112:113], v[176:179]// 000000002ED0: D3E100B0 0EC2E180
	v_mfma_f32_16x16x16_bf16 v[176:179], a[130:131], v[114:115], v[176:179]// 000000002ED8: D3E100B0 0EC2E582
	buffer_load_dwordx4 a[224:227], v200, s[20:23], 0 offen offset:1024// 000000002EE0: E05C1400 8085E0C8
	v_mfma_f32_16x16x16_bf16 v[176:179], a[132:133], v[116:117], v[176:179]// 000000002EE8: D3E100B0 0EC2E984
	v_mfma_f32_16x16x16_bf16 v[176:179], a[134:135], v[118:119], v[176:179]// 000000002EF0: D3E100B0 0EC2ED86
	v_mfma_f32_16x16x16_bf16 v[176:179], a[136:137], v[120:121], v[176:179]// 000000002EF8: D3E100B0 0EC2F188
	v_mfma_f32_16x16x16_bf16 v[176:179], a[138:139], v[122:123], v[176:179]// 000000002F00: D3E100B0 0EC2F58A
	buffer_load_dwordx4 a[228:231], v201, s[20:23], 0 offen offset:1024// 000000002F08: E05C1400 8085E4C9
	v_mfma_f32_16x16x16_bf16 v[176:179], a[140:141], v[124:125], v[176:179]// 000000002F10: D3E100B0 0EC2F98C
	v_mfma_f32_16x16x16_bf16 v[176:179], a[142:143], v[126:127], v[176:179]// 000000002F18: D3E100B0 0EC2FD8E
	v_mfma_f32_16x16x16_bf16 v[176:179], a[144:145], v[128:129], v[176:179]// 000000002F20: D3E100B0 0EC30190
	v_mfma_f32_16x16x16_bf16 v[176:179], a[146:147], v[130:131], v[176:179]// 000000002F28: D3E100B0 0EC30592
	buffer_load_dwordx4 a[232:235], v202, s[20:23], 0 offen offset:1024// 000000002F30: E05C1400 8085E8CA
	v_mfma_f32_16x16x16_bf16 v[176:179], a[148:149], v[132:133], v[176:179]// 000000002F38: D3E100B0 0EC30994
	v_mfma_f32_16x16x16_bf16 v[176:179], a[150:151], v[134:135], v[176:179]// 000000002F40: D3E100B0 0EC30D96
	v_mfma_f32_16x16x16_bf16 v[176:179], a[152:153], v[136:137], v[176:179]// 000000002F48: D3E100B0 0EC31198
	v_mfma_f32_16x16x16_bf16 v[176:179], a[154:155], v[138:139], v[176:179]// 000000002F50: D3E100B0 0EC3159A
	buffer_load_dwordx4 a[236:239], v203, s[20:23], 0 offen offset:1024// 000000002F58: E05C1400 8085ECCB
	v_mfma_f32_16x16x16_bf16 v[176:179], a[156:157], v[140:141], v[176:179]// 000000002F60: D3E100B0 0EC3199C
	v_mfma_f32_16x16x16_bf16 v[176:179], a[158:159], v[142:143], v[176:179]// 000000002F68: D3E100B0 0EC31D9E
	v_mfma_f32_16x16x16_bf16 v[180:183], a[160:161], v[112:113], v[180:183]// 000000002F70: D3E100B4 0ED2E1A0
	v_mfma_f32_16x16x16_bf16 v[180:183], a[162:163], v[114:115], v[180:183]// 000000002F78: D3E100B4 0ED2E5A2
	buffer_load_dwordx4 a[240:243], v204, s[20:23], 0 offen offset:1024// 000000002F80: E05C1400 8085F0CC
	v_mfma_f32_16x16x16_bf16 v[180:183], a[164:165], v[116:117], v[180:183]// 000000002F88: D3E100B4 0ED2E9A4
	v_mfma_f32_16x16x16_bf16 v[180:183], a[166:167], v[118:119], v[180:183]// 000000002F90: D3E100B4 0ED2EDA6
	v_mfma_f32_16x16x16_bf16 v[180:183], a[168:169], v[120:121], v[180:183]// 000000002F98: D3E100B4 0ED2F1A8
	v_mfma_f32_16x16x16_bf16 v[180:183], a[170:171], v[122:123], v[180:183]// 000000002FA0: D3E100B4 0ED2F5AA
	buffer_load_dwordx4 a[244:247], v205, s[20:23], 0 offen offset:1024// 000000002FA8: E05C1400 8085F4CD
	v_mfma_f32_16x16x16_bf16 v[180:183], a[172:173], v[124:125], v[180:183]// 000000002FB0: D3E100B4 0ED2F9AC
	v_mfma_f32_16x16x16_bf16 v[180:183], a[174:175], v[126:127], v[180:183]// 000000002FB8: D3E100B4 0ED2FDAE
	v_mfma_f32_16x16x16_bf16 v[180:183], a[176:177], v[128:129], v[180:183]// 000000002FC0: D3E100B4 0ED301B0
	v_mfma_f32_16x16x16_bf16 v[180:183], a[178:179], v[130:131], v[180:183]// 000000002FC8: D3E100B4 0ED305B2
	buffer_load_dwordx4 a[248:251], v206, s[20:23], 0 offen offset:1024// 000000002FD0: E05C1400 8085F8CE
	v_mfma_f32_16x16x16_bf16 v[180:183], a[180:181], v[132:133], v[180:183]// 000000002FD8: D3E100B4 0ED309B4
	v_mfma_f32_16x16x16_bf16 v[180:183], a[182:183], v[134:135], v[180:183]// 000000002FE0: D3E100B4 0ED30DB6
	v_mfma_f32_16x16x16_bf16 v[180:183], a[184:185], v[136:137], v[180:183]// 000000002FE8: D3E100B4 0ED311B8
	v_mfma_f32_16x16x16_bf16 v[180:183], a[186:187], v[138:139], v[180:183]// 000000002FF0: D3E100B4 0ED315BA
	buffer_load_dwordx4 a[252:255], v207, s[20:23], 0 offen offset:1024// 000000002FF8: E05C1400 8085FCCF
	v_mfma_f32_16x16x16_bf16 v[180:183], a[188:189], v[140:141], v[180:183]// 000000003000: D3E100B4 0ED319BC
	v_mfma_f32_16x16x16_bf16 v[180:183], a[190:191], v[142:143], v[180:183]// 000000003008: D3E100B4 0ED31DBE
	s_lshr_b32 s60, s70, 4                                     // 000000003010: 8F3C8446
	s_add_u32 s60, 48, s60                                     // 000000003014: 803C3CB0
	s_cmp_ge_u32 s60, s73                                      // 000000003018: BF09493C
	s_cselect_b32 s56, 0, s56                                  // 00000000301C: 85383880
	v_mul_u32_u24_dpp v39, v17, v54 row_newbcast:0 row_mask:0xf bank_mask:0xf// 000000003020: 104E6CFA FF015011
	v_mul_u32_u24_dpp v40, v17, v54 row_newbcast:4 row_mask:0xf bank_mask:0xf// 000000003028: 10506CFA FF015411
	v_mul_u32_u24_dpp v41, v17, v54 row_newbcast:8 row_mask:0xf bank_mask:0xf// 000000003030: 10526CFA FF015811
	v_mul_u32_u24_dpp v42, v17, v54 row_newbcast:12 row_mask:0xf bank_mask:0xf// 000000003038: 10546CFA FF015C11
	v_add_u32_e32 v23, v39, v6                                 // 000000003040: 682E0D27
	v_add_u32_e32 v24, v40, v6                                 // 000000003044: 68300D28
	v_add_u32_e32 v25, v41, v6                                 // 000000003048: 68320D29
	v_add_u32_e32 v26, v42, v6                                 // 00000000304C: 68340D2A
	v_mul_u32_u24_dpp v39, v17, v54 row_newbcast:1 row_mask:0xf bank_mask:0xf// 000000003050: 104E6CFA FF015111
	v_mul_u32_u24_dpp v40, v17, v54 row_newbcast:2 row_mask:0xf bank_mask:0xf// 000000003058: 10506CFA FF015211
	v_mul_u32_u24_dpp v41, v17, v54 row_newbcast:5 row_mask:0xf bank_mask:0xf// 000000003060: 10526CFA FF015511
	v_mul_u32_u24_dpp v42, v17, v54 row_newbcast:6 row_mask:0xf bank_mask:0xf// 000000003068: 10546CFA FF015611
	v_add_u32_e32 v192, v39, v7                                // 000000003070: 69800F27
	v_add_u32_e32 v193, v40, v7                                // 000000003074: 69820F28
	v_add_u32_e32 v194, v41, v7                                // 000000003078: 69840F29
	v_add_u32_e32 v195, v42, v7                                // 00000000307C: 69860F2A
	v_mul_u32_u24_dpp v39, v17, v54 row_newbcast:9 row_mask:0xf bank_mask:0xf// 000000003080: 104E6CFA FF015911
	v_mul_u32_u24_dpp v40, v17, v54 row_newbcast:10 row_mask:0xf bank_mask:0xf// 000000003088: 10506CFA FF015A11
	v_mul_u32_u24_dpp v41, v17, v54 row_newbcast:13 row_mask:0xf bank_mask:0xf// 000000003090: 10526CFA FF015D11
	v_mul_u32_u24_dpp v42, v17, v54 row_newbcast:7 row_mask:0xf bank_mask:0xf// 000000003098: 10546CFA FF015711
	v_add_u32_e32 v196, v39, v7                                // 0000000030A0: 69880F27
	v_add_u32_e32 v197, v40, v7                                // 0000000030A4: 698A0F28
	v_add_u32_e32 v198, v41, v7                                // 0000000030A8: 698C0F29
	v_add_u32_e32 v199, v42, v7                                // 0000000030AC: 698E0F2A
	v_add_u32_e32 v1, s56, v1                                  // 0000000030B0: 68020238
	s_addk_i32 s70, 0x100                                      // 0000000030B4: B7460100
	s_cmp_lt_i32 s70, s71                                      // 0000000030B8: BF044746
	s_cbranch_scc0 label_05A7                                  // 0000000030BC: BF8401F7
	s_waitcnt vmcnt(16) lgkmcnt(0)                             // 0000000030C0: BF8C4070
	v_mfma_f32_16x16x16_bf16 v[112:115], a[64:65], v[80:81], 0 // 0000000030C4: D3E10070 0A02A140
	v_mfma_f32_16x16x16_bf16 v[112:115], a[66:67], v[82:83], v[112:115]// 0000000030CC: D3E10070 0DC2A542
	buffer_load_dwordx4 a[0:3], v23, s[16:19], 0 offen         // 0000000030D4: E05C1000 80840017
	v_mfma_f32_16x16x16_bf16 v[112:115], a[68:69], v[84:85], v[112:115]// 0000000030DC: D3E10070 0DC2A944
	v_mfma_f32_16x16x16_bf16 v[112:115], a[70:71], v[86:87], v[112:115]// 0000000030E4: D3E10070 0DC2AD46
	buffer_load_dword v18, v1, s[24:27], 0 offen               // 0000000030EC: E0501000 80061201
	v_mfma_f32_16x16x16_bf16 v[112:115], a[72:73], v[88:89], v[112:115]// 0000000030F4: D3E10070 0DC2B148
	v_mfma_f32_16x16x16_bf16 v[112:115], a[74:75], v[90:91], v[112:115]// 0000000030FC: D3E10070 0DC2B54A
	buffer_load_dwordx4 a[4:7], v23, s[16:19], 0 offen offset:1024// 000000003104: E05C1400 80840417
	v_mfma_f32_16x16x16_bf16 v[112:115], a[76:77], v[92:93], v[112:115]// 00000000310C: D3E10070 0DC2B94C
	v_mfma_f32_16x16x16_bf16 v[112:115], a[78:79], v[94:95], v[112:115]// 000000003114: D3E10070 0DC2BD4E
	v_mfma_f32_16x16x16_bf16 v[116:119], a[80:81], v[80:81], 0 // 00000000311C: D3E10074 0A02A150
	v_mfma_f32_16x16x16_bf16 v[116:119], a[82:83], v[82:83], v[116:119]// 000000003124: D3E10074 0DD2A552
	buffer_load_dwordx4 a[8:11], v23, s[16:19], 0 offen offset:2048// 00000000312C: E05C1800 80840817
	v_mfma_f32_16x16x16_bf16 v[116:119], a[84:85], v[84:85], v[116:119]// 000000003134: D3E10074 0DD2A954
	v_mfma_f32_16x16x16_bf16 v[116:119], a[86:87], v[86:87], v[116:119]// 00000000313C: D3E10074 0DD2AD56
	v_mfma_f32_16x16x16_bf16 v[116:119], a[88:89], v[88:89], v[116:119]// 000000003144: D3E10074 0DD2B158
	v_mfma_f32_16x16x16_bf16 v[116:119], a[90:91], v[90:91], v[116:119]// 00000000314C: D3E10074 0DD2B55A
	buffer_load_dwordx4 a[12:15], v23, s[16:19], 0 offen offset:3072// 000000003154: E05C1C00 80840C17
	v_mfma_f32_16x16x16_bf16 v[116:119], a[92:93], v[92:93], v[116:119]// 00000000315C: D3E10074 0DD2B95C
	v_mfma_f32_16x16x16_bf16 v[116:119], a[94:95], v[94:95], v[116:119]// 000000003164: D3E10074 0DD2BD5E
	v_mfma_f32_16x16x16_bf16 v[120:123], a[96:97], v[80:81], 0 // 00000000316C: D3E10078 0A02A160
	v_mfma_f32_16x16x16_bf16 v[120:123], a[98:99], v[82:83], v[120:123]// 000000003174: D3E10078 0DE2A562
	buffer_load_dwordx4 a[16:19], v24, s[16:19], 0 offen       // 00000000317C: E05C1000 80841018
	v_mfma_f32_16x16x16_bf16 v[120:123], a[100:101], v[84:85], v[120:123]// 000000003184: D3E10078 0DE2A964
	v_mfma_f32_16x16x16_bf16 v[120:123], a[102:103], v[86:87], v[120:123]// 00000000318C: D3E10078 0DE2AD66
	v_mfma_f32_16x16x16_bf16 v[120:123], a[104:105], v[88:89], v[120:123]// 000000003194: D3E10078 0DE2B168
	v_mfma_f32_16x16x16_bf16 v[120:123], a[106:107], v[90:91], v[120:123]// 00000000319C: D3E10078 0DE2B56A
	buffer_load_dwordx4 a[20:23], v24, s[16:19], 0 offen offset:1024// 0000000031A4: E05C1400 80841418
	v_mfma_f32_16x16x16_bf16 v[120:123], a[108:109], v[92:93], v[120:123]// 0000000031AC: D3E10078 0DE2B96C
	v_mfma_f32_16x16x16_bf16 v[120:123], a[110:111], v[94:95], v[120:123]// 0000000031B4: D3E10078 0DE2BD6E
	v_mfma_f32_16x16x16_bf16 v[124:127], a[112:113], v[80:81], 0// 0000000031BC: D3E1007C 0A02A170
	v_mfma_f32_16x16x16_bf16 v[124:127], a[114:115], v[82:83], v[124:127]// 0000000031C4: D3E1007C 0DF2A572
	buffer_load_dwordx4 a[24:27], v24, s[16:19], 0 offen offset:2048// 0000000031CC: E05C1800 80841818
	v_mfma_f32_16x16x16_bf16 v[124:127], a[116:117], v[84:85], v[124:127]// 0000000031D4: D3E1007C 0DF2A974
	v_mfma_f32_16x16x16_bf16 v[124:127], a[118:119], v[86:87], v[124:127]// 0000000031DC: D3E1007C 0DF2AD76
	v_mfma_f32_16x16x16_bf16 v[124:127], a[120:121], v[88:89], v[124:127]// 0000000031E4: D3E1007C 0DF2B178
	v_mfma_f32_16x16x16_bf16 v[124:127], a[122:123], v[90:91], v[124:127]// 0000000031EC: D3E1007C 0DF2B57A
	buffer_load_dwordx4 a[28:31], v24, s[16:19], 0 offen offset:3072// 0000000031F4: E05C1C00 80841C18
	v_mfma_f32_16x16x16_bf16 v[124:127], a[124:125], v[92:93], v[124:127]// 0000000031FC: D3E1007C 0DF2B97C
	v_mfma_f32_16x16x16_bf16 v[124:127], a[126:127], v[94:95], v[124:127]// 000000003204: D3E1007C 0DF2BD7E
	buffer_load_dwordx4 a[32:35], v25, s[16:19], 0 offen       // 00000000320C: E05C1000 80842019
	s_nop 8                                                    // 000000003214: BF800008
	v_or_b32_dpp v112, v120, v112 row_shr:8 row_mask:0xf bank_mask:0xf bound_ctrl:1// 000000003218: 28E0E0FA FF091878
	v_or_b32_dpp v113, v121, v113 row_shr:8 row_mask:0xf bank_mask:0xf bound_ctrl:1// 000000003220: 28E2E2FA FF091879
	v_or_b32_dpp v114, v122, v114 row_shr:8 row_mask:0xf bank_mask:0xf bound_ctrl:1// 000000003228: 28E4E4FA FF09187A
	v_or_b32_dpp v115, v123, v115 row_shr:8 row_mask:0xf bank_mask:0xf bound_ctrl:1// 000000003230: 28E6E6FA FF09187B
	v_or_b32_dpp v116, v124, v116 row_shr:8 row_mask:0xf bank_mask:0xf bound_ctrl:1// 000000003238: 28E8E8FA FF09187C
	v_or_b32_dpp v117, v125, v117 row_shr:8 row_mask:0xf bank_mask:0xf bound_ctrl:1// 000000003240: 28EAEAFA FF09187D
	v_or_b32_dpp v118, v126, v118 row_shr:8 row_mask:0xf bank_mask:0xf bound_ctrl:1// 000000003248: 28ECECFA FF09187E
	v_or_b32_dpp v119, v127, v119 row_shr:8 row_mask:0xf bank_mask:0xf bound_ctrl:1// 000000003250: 28EEEEFA FF09187F
	buffer_load_dwordx4 a[36:39], v25, s[16:19], 0 offen offset:1024// 000000003258: E05C1400 80842419
	v_mov_b32_e32 v50, v112                                    // 000000003260: 7E640370
	v_max3_f32 v50, v112, v113, v50                            // 000000003264: D1D30032 04CAE370
	v_max3_f32 v50, v114, v115, v50                            // 00000000326C: D1D30032 04CAE772
	v_max3_f32 v50, v116, v117, v50                            // 000000003274: D1D30032 04CAEB74
	v_max3_f32 v50, v118, v119, v50                            // 00000000327C: D1D30032 04CAEF76
	ds_write_b32 v11, v50                                      // 000000003284: D81A0000 0000320B
	buffer_load_dwordx4 a[40:43], v25, s[16:19], 0 offen offset:2048// 00000000328C: E05C1800 80842819
	s_waitcnt lgkmcnt(0)                                       // 000000003294: BF8CC07F
	s_barrier                                                  // 000000003298: BF8A0000
	ds_read_b32 v64, v10                                       // 00000000329C: D86C0000 4000000A
	buffer_load_dwordx4 a[44:47], v25, s[16:19], 0 offen offset:3072// 0000000032A4: E05C1C00 80842C19
	ds_read_b32 v65, v10 offset:64                             // 0000000032AC: D86C0040 4100000A
	ds_read_b32 v66, v10 offset:128                            // 0000000032B4: D86C0080 4200000A
	ds_read_b32 v67, v10 offset:192                            // 0000000032BC: D86C00C0 4300000A
	ds_read_b32 v68, v10 offset:256                            // 0000000032C4: D86C0100 4400000A
	ds_read_b32 v69, v10 offset:320                            // 0000000032CC: D86C0140 4500000A
	ds_read_b32 v70, v10 offset:384                            // 0000000032D4: D86C0180 4600000A
	ds_read_b32 v71, v10 offset:448                            // 0000000032DC: D86C01C0 4700000A
	ds_read_b32 v72, v10 offset:512                            // 0000000032E4: D86C0200 4800000A
	buffer_load_dwordx4 a[48:51], v26, s[16:19], 0 offen       // 0000000032EC: E05C1000 8084301A
	ds_read_b32 v73, v10 offset:576                            // 0000000032F4: D86C0240 4900000A
	ds_read_b32 v74, v10 offset:640                            // 0000000032FC: D86C0280 4A00000A
	ds_read_b32 v75, v10 offset:704                            // 000000003304: D86C02C0 4B00000A
	ds_read_b32 v76, v10 offset:768                            // 00000000330C: D86C0300 4C00000A
	ds_read_b32 v77, v10 offset:832                            // 000000003314: D86C0340 4D00000A
	ds_read_b32 v78, v10 offset:896                            // 00000000331C: D86C0380 4E00000A
	ds_read_b32 v79, v10 offset:960                            // 000000003324: D86C03C0 4F00000A
	buffer_load_dwordx4 a[52:55], v26, s[16:19], 0 offen offset:1024// 00000000332C: E05C1400 8084341A
	buffer_load_dwordx4 a[56:59], v26, s[16:19], 0 offen offset:2048// 000000003334: E05C1800 8084381A
	s_waitcnt lgkmcnt(0)                                       // 00000000333C: BF8CC07F
	v_max3_f32 v50, v64, v65, v50                              // 000000003340: D1D30032 04CA8340
	v_max3_f32 v50, v66, v67, v50                              // 000000003348: D1D30032 04CA8742
	v_max3_f32 v50, v68, v69, v50                              // 000000003350: D1D30032 04CA8B44
	v_max3_f32 v50, v70, v71, v50                              // 000000003358: D1D30032 04CA8F46
	v_max3_f32 v50, v72, v73, v50                              // 000000003360: D1D30032 04CA9348
	v_max3_f32 v50, v74, v75, v50                              // 000000003368: D1D30032 04CA974A
	v_max3_f32 v50, v76, v77, v50                              // 000000003370: D1D30032 04CA9B4C
	v_max3_f32 v50, v78, v79, v50                              // 000000003378: D1D30032 04CA9F4E
	buffer_load_dwordx4 a[60:63], v26, s[16:19], 0 offen offset:3072// 000000003380: E05C1C00 80843C1A
	v_cmp_eq_u32_e64 s[40:41], v55, v14                        // 000000003388: D0CA0028 00021D37
	s_nop 1                                                    // 000000003390: BF800001
	v_mov_b32_dpp v39, v50 row_ror:8 row_mask:0xf bank_mask:0xf// 000000003394: 7E4E02FA FF012832
	v_max_f32_e32 v50, v50, v39                                // 00000000339C: 16644F32
	v_max_f32_e32 v16, v50, v14                                // 0000000033A0: 16201D32
	v_sub_f32_e32 v51, v14, v16                                // 0000000033A4: 0466210E
	v_cndmask_b32_e64 v51, v51, 0, s[40:41]                    // 0000000033A8: D1000033 00A10133
	v_mov_b32_e32 v14, v16                                     // 0000000033B0: 7E1C0310
	v_mul_f32_e32 v53, s64, v16                                // 0000000033B4: 0A6A2040
	v_mul_f32_e32 v51, s64, v51                                // 0000000033B8: 0A666640
	v_exp_f32_e32 v51, v51                                     // 0000000033BC: 7E664133
	buffer_load_dwordx4 a[128:131], v192, s[20:23], 0 offen    // 0000000033C0: E05C1000 808580C0
	v_fma_f32 v112, v112, s64, -v53                            // 0000000033C8: D1CB0070 84D48170
	v_fma_f32 v113, v113, s64, -v53                            // 0000000033D0: D1CB0071 84D48171
	v_fma_f32 v114, v114, s64, -v53                            // 0000000033D8: D1CB0072 84D48172
	v_fma_f32 v115, v115, s64, -v53                            // 0000000033E0: D1CB0073 84D48173
	v_fma_f32 v116, v116, s64, -v53                            // 0000000033E8: D1CB0074 84D48174
	v_fma_f32 v117, v117, s64, -v53                            // 0000000033F0: D1CB0075 84D48175
	v_fma_f32 v118, v118, s64, -v53                            // 0000000033F8: D1CB0076 84D48176
	v_fma_f32 v119, v119, s64, -v53                            // 000000003400: D1CB0077 84D48177
	v_exp_f32_e32 v112, v112                                   // 000000003408: 7EE04170
	v_exp_f32_e32 v113, v113                                   // 00000000340C: 7EE24171
	v_exp_f32_e32 v114, v114                                   // 000000003410: 7EE44172
	v_exp_f32_e32 v115, v115                                   // 000000003414: 7EE64173
	v_exp_f32_e32 v116, v116                                   // 000000003418: 7EE84174
	v_exp_f32_e32 v117, v117                                   // 00000000341C: 7EEA4175
	v_exp_f32_e32 v118, v118                                   // 000000003420: 7EEC4176
	v_exp_f32_e32 v119, v119                                   // 000000003424: 7EEE4177
	buffer_load_dwordx4 a[132:135], v193, s[20:23], 0 offen    // 000000003428: E05C1000 808584C1
	v_mul_f32_e32 v43, v51, v43                                // 000000003430: 0A565733
	v_mov_b32_e32 v45, v112                                    // 000000003434: 7E5A0370
	v_add_f32_e32 v45, v113, v45                               // 000000003438: 025A5B71
	v_add_f32_e32 v45, v114, v45                               // 00000000343C: 025A5B72
	v_add_f32_e32 v45, v115, v45                               // 000000003440: 025A5B73
	v_add_f32_e32 v45, v116, v45                               // 000000003444: 025A5B74
	v_add_f32_e32 v45, v117, v45                               // 000000003448: 025A5B75
	v_add_f32_e32 v45, v118, v45                               // 00000000344C: 025A5B76
	v_add_f32_e32 v45, v119, v45                               // 000000003450: 025A5B77
	v_add_f32_e32 v43, v45, v43                                // 000000003454: 0256572D
	buffer_load_dwordx4 a[136:139], v194, s[20:23], 0 offen    // 000000003458: E05C1000 808588C2
	v_cmp_u_f32_e64 s[40:41], v112, v112                       // 000000003460: D0480028 0002E170
	v_add3_u32 v19, v112, v22, 1                               // 000000003468: D1FF0013 02062D70
	v_cndmask_b32_e64 v39, v19, v21, s[40:41]                  // 000000003470: D1000027 00A22B13
	v_cmp_u_f32_e64 s[40:41], v113, v113                       // 000000003478: D0480028 0002E371
	v_add3_u32 v19, v113, v22, 1                               // 000000003480: D1FF0013 02062D71
	v_cndmask_b32_e64 v40, v19, v21, s[40:41]                  // 000000003488: D1000028 00A22B13
	v_perm_b32 v112, v40, v39, s52                             // 000000003490: D1ED0070 00D24F28
	v_cmp_u_f32_e64 s[40:41], v114, v114                       // 000000003498: D0480028 0002E572
	v_add3_u32 v19, v114, v22, 1                               // 0000000034A0: D1FF0013 02062D72
	v_cndmask_b32_e64 v39, v19, v21, s[40:41]                  // 0000000034A8: D1000027 00A22B13
	v_cmp_u_f32_e64 s[40:41], v115, v115                       // 0000000034B0: D0480028 0002E773
	v_add3_u32 v19, v115, v22, 1                               // 0000000034B8: D1FF0013 02062D73
	v_cndmask_b32_e64 v40, v19, v21, s[40:41]                  // 0000000034C0: D1000028 00A22B13
	v_perm_b32 v113, v40, v39, s52                             // 0000000034C8: D1ED0071 00D24F28
	v_cmp_u_f32_e64 s[40:41], v116, v116                       // 0000000034D0: D0480028 0002E974
	v_add3_u32 v19, v116, v22, 1                               // 0000000034D8: D1FF0013 02062D74
	v_cndmask_b32_e64 v39, v19, v21, s[40:41]                  // 0000000034E0: D1000027 00A22B13
	v_cmp_u_f32_e64 s[40:41], v117, v117                       // 0000000034E8: D0480028 0002EB75
	v_add3_u32 v19, v117, v22, 1                               // 0000000034F0: D1FF0013 02062D75
	v_cndmask_b32_e64 v40, v19, v21, s[40:41]                  // 0000000034F8: D1000028 00A22B13
	v_perm_b32 v114, v40, v39, s52                             // 000000003500: D1ED0072 00D24F28
	v_cmp_u_f32_e64 s[40:41], v118, v118                       // 000000003508: D0480028 0002ED76
	v_add3_u32 v19, v118, v22, 1                               // 000000003510: D1FF0013 02062D76
	v_cndmask_b32_e64 v39, v19, v21, s[40:41]                  // 000000003518: D1000027 00A22B13
	v_cmp_u_f32_e64 s[40:41], v119, v119                       // 000000003520: D0480028 0002EF77
	v_add3_u32 v19, v119, v22, 1                               // 000000003528: D1FF0013 02062D77
	v_cndmask_b32_e64 v40, v19, v21, s[40:41]                  // 000000003530: D1000028 00A22B13
	v_perm_b32 v115, v40, v39, s52                             // 000000003538: D1ED0073 00D24F28
	buffer_load_dwordx4 a[140:143], v195, s[20:23], 0 offen    // 000000003540: E05C1000 80858CC3
	buffer_load_dwordx4 a[144:147], v196, s[20:23], 0 offen    // 000000003548: E05C1000 808590C4
	ds_write_b64 v13, v[112:113] offset:4096                   // 000000003550: D89A1000 0000700D
	ds_write_b64 v13, v[114:115] offset:6144                   // 000000003558: D89A1800 0000720D
	buffer_load_dwordx4 a[148:151], v197, s[20:23], 0 offen    // 000000003560: E05C1000 808594C5
	s_waitcnt lgkmcnt(0)                                       // 000000003568: BF8CC07F
	s_barrier                                                  // 00000000356C: BF8A0000
	ds_read_b64 v[112:113], v12 offset:4096                    // 000000003570: D8EC1000 7000000C
	ds_read_b64 v[114:115], v12 offset:4224                    // 000000003578: D8EC1080 7200000C
	ds_read_b64 v[116:117], v12 offset:5120                    // 000000003580: D8EC1400 7400000C
	ds_read_b64 v[118:119], v12 offset:5248                    // 000000003588: D8EC1480 7600000C
	ds_read_b64 v[120:121], v12 offset:6144                    // 000000003590: D8EC1800 7800000C
	ds_read_b64 v[122:123], v12 offset:6272                    // 000000003598: D8EC1880 7A00000C
	ds_read_b64 v[124:125], v12 offset:7168                    // 0000000035A0: D8EC1C00 7C00000C
	ds_read_b64 v[126:127], v12 offset:7296                    // 0000000035A8: D8EC1C80 7E00000C
	buffer_load_dwordx4 a[152:155], v198, s[20:23], 0 offen    // 0000000035B0: E05C1000 808598C6
	s_waitcnt lgkmcnt(0)                                       // 0000000035B8: BF8CC07F
	v_mov_b32_dpp v128, v112 row_shl:8 row_mask:0xf bank_mask:0xf bound_ctrl:1// 0000000035BC: 7F0002FA FF090870
	v_and_b32_e32 v112, v112, v9                               // 0000000035C4: 26E01370
	v_mov_b32_dpp v129, v113 row_shl:8 row_mask:0xf bank_mask:0xf bound_ctrl:1// 0000000035C8: 7F0202FA FF090871
	v_and_b32_e32 v113, v113, v9                               // 0000000035D0: 26E21371
	v_mov_b32_dpp v130, v114 row_shl:8 row_mask:0xf bank_mask:0xf bound_ctrl:1// 0000000035D4: 7F0402FA FF090872
	v_and_b32_e32 v114, v114, v9                               // 0000000035DC: 26E41372
	v_mov_b32_dpp v131, v115 row_shl:8 row_mask:0xf bank_mask:0xf bound_ctrl:1// 0000000035E0: 7F0602FA FF090873
	v_and_b32_e32 v115, v115, v9                               // 0000000035E8: 26E61373
	v_mov_b32_dpp v132, v116 row_shl:8 row_mask:0xf bank_mask:0xf bound_ctrl:1// 0000000035EC: 7F0802FA FF090874
	v_and_b32_e32 v116, v116, v9                               // 0000000035F4: 26E81374
	v_mov_b32_dpp v133, v117 row_shl:8 row_mask:0xf bank_mask:0xf bound_ctrl:1// 0000000035F8: 7F0A02FA FF090875
	v_and_b32_e32 v117, v117, v9                               // 000000003600: 26EA1375
	v_mov_b32_dpp v134, v118 row_shl:8 row_mask:0xf bank_mask:0xf bound_ctrl:1// 000000003604: 7F0C02FA FF090876
	v_and_b32_e32 v118, v118, v9                               // 00000000360C: 26EC1376
	v_mov_b32_dpp v135, v119 row_shl:8 row_mask:0xf bank_mask:0xf bound_ctrl:1// 000000003610: 7F0E02FA FF090877
	v_and_b32_e32 v119, v119, v9                               // 000000003618: 26EE1377
	v_mov_b32_dpp v136, v120 row_shl:8 row_mask:0xf bank_mask:0xf bound_ctrl:1// 00000000361C: 7F1002FA FF090878
	v_and_b32_e32 v120, v120, v9                               // 000000003624: 26F01378
	v_mov_b32_dpp v137, v121 row_shl:8 row_mask:0xf bank_mask:0xf bound_ctrl:1// 000000003628: 7F1202FA FF090879
	v_and_b32_e32 v121, v121, v9                               // 000000003630: 26F21379
	v_mov_b32_dpp v138, v122 row_shl:8 row_mask:0xf bank_mask:0xf bound_ctrl:1// 000000003634: 7F1402FA FF09087A
	v_and_b32_e32 v122, v122, v9                               // 00000000363C: 26F4137A
	v_mov_b32_dpp v139, v123 row_shl:8 row_mask:0xf bank_mask:0xf bound_ctrl:1// 000000003640: 7F1602FA FF09087B
	v_and_b32_e32 v123, v123, v9                               // 000000003648: 26F6137B
	v_mov_b32_dpp v140, v124 row_shl:8 row_mask:0xf bank_mask:0xf bound_ctrl:1// 00000000364C: 7F1802FA FF09087C
	v_and_b32_e32 v124, v124, v9                               // 000000003654: 26F8137C
	v_mov_b32_dpp v141, v125 row_shl:8 row_mask:0xf bank_mask:0xf bound_ctrl:1// 000000003658: 7F1A02FA FF09087D
	v_and_b32_e32 v125, v125, v9                               // 000000003660: 26FA137D
	v_mov_b32_dpp v142, v126 row_shl:8 row_mask:0xf bank_mask:0xf bound_ctrl:1// 000000003664: 7F1C02FA FF09087E
	v_and_b32_e32 v126, v126, v9                               // 00000000366C: 26FC137E
	v_mov_b32_dpp v143, v127 row_shl:8 row_mask:0xf bank_mask:0xf bound_ctrl:1// 000000003670: 7F1E02FA FF09087F
	v_and_b32_e32 v127, v127, v9                               // 000000003678: 26FE137F
	buffer_load_dwordx4 a[156:159], v199, s[20:23], 0 offen    // 00000000367C: E05C1000 80859CC7
	v_mul_f32_e32 v176, v51, v176                              // 000000003684: 0B616133
	v_mul_f32_e32 v177, v51, v177                              // 000000003688: 0B636333
	v_mul_f32_e32 v178, v51, v178                              // 00000000368C: 0B656533
	v_mul_f32_e32 v179, v51, v179                              // 000000003690: 0B676733
	v_mul_f32_e32 v180, v51, v180                              // 000000003694: 0B696933
	v_mul_f32_e32 v181, v51, v181                              // 000000003698: 0B6B6B33
	v_mul_f32_e32 v182, v51, v182                              // 00000000369C: 0B6D6D33
	v_mul_f32_e32 v183, v51, v183                              // 0000000036A0: 0B6F6F33
	s_waitcnt vmcnt(24)                                        // 0000000036A4: BF8C4F78
	v_mfma_f32_16x16x16_bf16 v[176:179], a[192:193], v[112:113], v[176:179]// 0000000036A8: D3E100B0 0EC2E1C0
	v_mfma_f32_16x16x16_bf16 v[176:179], a[194:195], v[114:115], v[176:179]// 0000000036B0: D3E100B0 0EC2E5C2
	buffer_load_dwordx4 a[160:163], v192, s[20:23], 0 offen offset:1024// 0000000036B8: E05C1400 8085A0C0
	v_mfma_f32_16x16x16_bf16 v[176:179], a[196:197], v[116:117], v[176:179]// 0000000036C0: D3E100B0 0EC2E9C4
	v_mfma_f32_16x16x16_bf16 v[176:179], a[198:199], v[118:119], v[176:179]// 0000000036C8: D3E100B0 0EC2EDC6
	v_mfma_f32_16x16x16_bf16 v[176:179], a[200:201], v[120:121], v[176:179]// 0000000036D0: D3E100B0 0EC2F1C8
	v_mfma_f32_16x16x16_bf16 v[176:179], a[202:203], v[122:123], v[176:179]// 0000000036D8: D3E100B0 0EC2F5CA
	buffer_load_dwordx4 a[164:167], v193, s[20:23], 0 offen offset:1024// 0000000036E0: E05C1400 8085A4C1
	v_mfma_f32_16x16x16_bf16 v[176:179], a[204:205], v[124:125], v[176:179]// 0000000036E8: D3E100B0 0EC2F9CC
	v_mfma_f32_16x16x16_bf16 v[176:179], a[206:207], v[126:127], v[176:179]// 0000000036F0: D3E100B0 0EC2FDCE
	v_mfma_f32_16x16x16_bf16 v[176:179], a[208:209], v[128:129], v[176:179]// 0000000036F8: D3E100B0 0EC301D0
	v_mfma_f32_16x16x16_bf16 v[176:179], a[210:211], v[130:131], v[176:179]// 000000003700: D3E100B0 0EC305D2
	buffer_load_dwordx4 a[168:171], v194, s[20:23], 0 offen offset:1024// 000000003708: E05C1400 8085A8C2
	v_mfma_f32_16x16x16_bf16 v[176:179], a[212:213], v[132:133], v[176:179]// 000000003710: D3E100B0 0EC309D4
	v_mfma_f32_16x16x16_bf16 v[176:179], a[214:215], v[134:135], v[176:179]// 000000003718: D3E100B0 0EC30DD6
	v_mfma_f32_16x16x16_bf16 v[176:179], a[216:217], v[136:137], v[176:179]// 000000003720: D3E100B0 0EC311D8
	v_mfma_f32_16x16x16_bf16 v[176:179], a[218:219], v[138:139], v[176:179]// 000000003728: D3E100B0 0EC315DA
	buffer_load_dwordx4 a[172:175], v195, s[20:23], 0 offen offset:1024// 000000003730: E05C1400 8085ACC3
	v_mfma_f32_16x16x16_bf16 v[176:179], a[220:221], v[140:141], v[176:179]// 000000003738: D3E100B0 0EC319DC
	v_mfma_f32_16x16x16_bf16 v[176:179], a[222:223], v[142:143], v[176:179]// 000000003740: D3E100B0 0EC31DDE
	v_mfma_f32_16x16x16_bf16 v[180:183], a[224:225], v[112:113], v[180:183]// 000000003748: D3E100B4 0ED2E1E0
	v_mfma_f32_16x16x16_bf16 v[180:183], a[226:227], v[114:115], v[180:183]// 000000003750: D3E100B4 0ED2E5E2
	buffer_load_dwordx4 a[176:179], v196, s[20:23], 0 offen offset:1024// 000000003758: E05C1400 8085B0C4
	v_mfma_f32_16x16x16_bf16 v[180:183], a[228:229], v[116:117], v[180:183]// 000000003760: D3E100B4 0ED2E9E4
	v_mfma_f32_16x16x16_bf16 v[180:183], a[230:231], v[118:119], v[180:183]// 000000003768: D3E100B4 0ED2EDE6
	v_mfma_f32_16x16x16_bf16 v[180:183], a[232:233], v[120:121], v[180:183]// 000000003770: D3E100B4 0ED2F1E8
	v_mfma_f32_16x16x16_bf16 v[180:183], a[234:235], v[122:123], v[180:183]// 000000003778: D3E100B4 0ED2F5EA
	buffer_load_dwordx4 a[180:183], v197, s[20:23], 0 offen offset:1024// 000000003780: E05C1400 8085B4C5
	v_mfma_f32_16x16x16_bf16 v[180:183], a[236:237], v[124:125], v[180:183]// 000000003788: D3E100B4 0ED2F9EC
	v_mfma_f32_16x16x16_bf16 v[180:183], a[238:239], v[126:127], v[180:183]// 000000003790: D3E100B4 0ED2FDEE
	v_mfma_f32_16x16x16_bf16 v[180:183], a[240:241], v[128:129], v[180:183]// 000000003798: D3E100B4 0ED301F0
	v_mfma_f32_16x16x16_bf16 v[180:183], a[242:243], v[130:131], v[180:183]// 0000000037A0: D3E100B4 0ED305F2
	buffer_load_dwordx4 a[184:187], v198, s[20:23], 0 offen offset:1024// 0000000037A8: E05C1400 8085B8C6
	v_mfma_f32_16x16x16_bf16 v[180:183], a[244:245], v[132:133], v[180:183]// 0000000037B0: D3E100B4 0ED309F4
	v_mfma_f32_16x16x16_bf16 v[180:183], a[246:247], v[134:135], v[180:183]// 0000000037B8: D3E100B4 0ED30DF6
	v_mfma_f32_16x16x16_bf16 v[180:183], a[248:249], v[136:137], v[180:183]// 0000000037C0: D3E100B4 0ED311F8
	v_mfma_f32_16x16x16_bf16 v[180:183], a[250:251], v[138:139], v[180:183]// 0000000037C8: D3E100B4 0ED315FA
	buffer_load_dwordx4 a[188:191], v199, s[20:23], 0 offen offset:1024// 0000000037D0: E05C1400 8085BCC7
	v_mfma_f32_16x16x16_bf16 v[180:183], a[252:253], v[140:141], v[180:183]// 0000000037D8: D3E100B4 0ED319FC
	v_mfma_f32_16x16x16_bf16 v[180:183], a[254:255], v[142:143], v[180:183]// 0000000037E0: D3E100B4 0ED31DFE
	s_lshr_b32 s60, s70, 4                                     // 0000000037E8: 8F3C8446
	s_add_u32 s60, 48, s60                                     // 0000000037EC: 803C3CB0
	s_cmp_ge_u32 s60, s73                                      // 0000000037F0: BF09493C
	s_cselect_b32 s56, 0, s56                                  // 0000000037F4: 85383880
	v_mul_u32_u24_dpp v39, v18, v54 row_newbcast:0 row_mask:0xf bank_mask:0xf// 0000000037F8: 104E6CFA FF015012
	v_mul_u32_u24_dpp v40, v18, v54 row_newbcast:4 row_mask:0xf bank_mask:0xf// 000000003800: 10506CFA FF015412
	v_mul_u32_u24_dpp v41, v18, v54 row_newbcast:8 row_mask:0xf bank_mask:0xf// 000000003808: 10526CFA FF015812
	v_mul_u32_u24_dpp v42, v18, v54 row_newbcast:12 row_mask:0xf bank_mask:0xf// 000000003810: 10546CFA FF015C12
	v_add_u32_e32 v27, v39, v6                                 // 000000003818: 68360D27
	v_add_u32_e32 v28, v40, v6                                 // 00000000381C: 68380D28
	v_add_u32_e32 v29, v41, v6                                 // 000000003820: 683A0D29
	v_add_u32_e32 v30, v42, v6                                 // 000000003824: 683C0D2A
	v_mul_u32_u24_dpp v39, v18, v54 row_newbcast:1 row_mask:0xf bank_mask:0xf// 000000003828: 104E6CFA FF015112
	v_mul_u32_u24_dpp v40, v18, v54 row_newbcast:2 row_mask:0xf bank_mask:0xf// 000000003830: 10506CFA FF015212
	v_mul_u32_u24_dpp v41, v18, v54 row_newbcast:5 row_mask:0xf bank_mask:0xf// 000000003838: 10526CFA FF015512
	v_mul_u32_u24_dpp v42, v18, v54 row_newbcast:6 row_mask:0xf bank_mask:0xf// 000000003840: 10546CFA FF015612
	v_add_u32_e32 v200, v39, v7                                // 000000003848: 69900F27
	v_add_u32_e32 v201, v40, v7                                // 00000000384C: 69920F28
	v_add_u32_e32 v202, v41, v7                                // 000000003850: 69940F29
	v_add_u32_e32 v203, v42, v7                                // 000000003854: 69960F2A
	v_mul_u32_u24_dpp v39, v18, v54 row_newbcast:9 row_mask:0xf bank_mask:0xf// 000000003858: 104E6CFA FF015912
	v_mul_u32_u24_dpp v40, v18, v54 row_newbcast:10 row_mask:0xf bank_mask:0xf// 000000003860: 10506CFA FF015A12
	v_mul_u32_u24_dpp v41, v18, v54 row_newbcast:13 row_mask:0xf bank_mask:0xf// 000000003868: 10526CFA FF015D12
	v_mul_u32_u24_dpp v42, v18, v54 row_newbcast:7 row_mask:0xf bank_mask:0xf// 000000003870: 10546CFA FF015712
	v_add_u32_e32 v204, v39, v7                                // 000000003878: 69980F27
	v_add_u32_e32 v205, v40, v7                                // 00000000387C: 699A0F28
	v_add_u32_e32 v206, v41, v7                                // 000000003880: 699C0F29
	v_add_u32_e32 v207, v42, v7                                // 000000003884: 699E0F2A
	v_add_u32_e32 v1, s56, v1                                  // 000000003888: 68020238
	s_addk_i32 s70, 0x100                                      // 00000000388C: B7460100
	s_cmp_lt_i32 s70, s71                                      // 000000003890: BF044746
	s_cbranch_scc0 label_05A7                                  // 000000003894: BF840001
	s_branch label_01BA                                        // 000000003898: BF82FC13

000000000000389c <label_05A7>:
	s_nop 0                                                    // 00000000389C: BF800000
	s_nop 0                                                    // 0000000038A0: BF800000
	s_branch label_0997                                        // 0000000038A4: BF8203ED

00000000000038a8 <label_05AA>:
	s_waitcnt vmcnt(16) lgkmcnt(0)                             // 0000000038A8: BF8C4070
	v_mfma_f32_16x16x16_bf16 v[112:115], a[0:1], v[80:81], 0   // 0000000038AC: D3E10070 0A02A100
	buffer_load_dwordx4 a[64:67], v27, s[16:19], 0 offen       // 0000000038B4: E05C1000 8084401B
	v_mfma_f32_16x16x16_bf16 v[112:115], a[2:3], v[82:83], v[112:115]// 0000000038BC: D3E10070 0DC2A502
	v_mfma_f32_16x16x16_bf16 v[112:115], a[4:5], v[84:85], v[112:115]// 0000000038C4: D3E10070 0DC2A904
	buffer_load_dword v17, v1, s[24:27], 0 offen               // 0000000038CC: E0501000 80061101
	v_mfma_f32_16x16x16_bf16 v[112:115], a[6:7], v[86:87], v[112:115]// 0000000038D4: D3E10070 0DC2AD06
	v_mfma_f32_16x16x16_bf16 v[112:115], a[8:9], v[88:89], v[112:115]// 0000000038DC: D3E10070 0DC2B108
	buffer_load_dwordx4 a[68:71], v27, s[16:19], 0 offen offset:1024// 0000000038E4: E05C1400 8084441B
	v_mfma_f32_16x16x16_bf16 v[112:115], a[10:11], v[90:91], v[112:115]// 0000000038EC: D3E10070 0DC2B50A
	v_mfma_f32_16x16x16_bf16 v[112:115], a[12:13], v[92:93], v[112:115]// 0000000038F4: D3E10070 0DC2B90C
	v_mfma_f32_16x16x16_bf16 v[112:115], a[14:15], v[94:95], v[112:115]// 0000000038FC: D3E10070 0DC2BD0E
	v_mfma_f32_16x16x16_bf16 v[116:119], a[16:17], v[80:81], 0 // 000000003904: D3E10074 0A02A110
	buffer_load_dwordx4 a[72:75], v27, s[16:19], 0 offen offset:2048// 00000000390C: E05C1800 8084481B
	v_mfma_f32_16x16x16_bf16 v[116:119], a[18:19], v[82:83], v[116:119]// 000000003914: D3E10074 0DD2A512
	v_mfma_f32_16x16x16_bf16 v[116:119], a[20:21], v[84:85], v[116:119]// 00000000391C: D3E10074 0DD2A914
	v_mfma_f32_16x16x16_bf16 v[116:119], a[22:23], v[86:87], v[116:119]// 000000003924: D3E10074 0DD2AD16
	v_mfma_f32_16x16x16_bf16 v[116:119], a[24:25], v[88:89], v[116:119]// 00000000392C: D3E10074 0DD2B118
	buffer_load_dwordx4 a[76:79], v27, s[16:19], 0 offen offset:3072// 000000003934: E05C1C00 80844C1B
	v_mfma_f32_16x16x16_bf16 v[116:119], a[26:27], v[90:91], v[116:119]// 00000000393C: D3E10074 0DD2B51A
	v_mfma_f32_16x16x16_bf16 v[116:119], a[28:29], v[92:93], v[116:119]// 000000003944: D3E10074 0DD2B91C
	v_mfma_f32_16x16x16_bf16 v[116:119], a[30:31], v[94:95], v[116:119]// 00000000394C: D3E10074 0DD2BD1E
	v_mfma_f32_16x16x16_bf16 v[120:123], a[32:33], v[80:81], 0 // 000000003954: D3E10078 0A02A120
	buffer_load_dwordx4 a[80:83], v28, s[16:19], 0 offen       // 00000000395C: E05C1000 8084501C
	v_mfma_f32_16x16x16_bf16 v[120:123], a[34:35], v[82:83], v[120:123]// 000000003964: D3E10078 0DE2A522
	v_mfma_f32_16x16x16_bf16 v[120:123], a[36:37], v[84:85], v[120:123]// 00000000396C: D3E10078 0DE2A924
	v_mfma_f32_16x16x16_bf16 v[120:123], a[38:39], v[86:87], v[120:123]// 000000003974: D3E10078 0DE2AD26
	v_mfma_f32_16x16x16_bf16 v[120:123], a[40:41], v[88:89], v[120:123]// 00000000397C: D3E10078 0DE2B128
	buffer_load_dwordx4 a[84:87], v28, s[16:19], 0 offen offset:1024// 000000003984: E05C1400 8084541C
	v_mfma_f32_16x16x16_bf16 v[120:123], a[42:43], v[90:91], v[120:123]// 00000000398C: D3E10078 0DE2B52A
	v_mfma_f32_16x16x16_bf16 v[120:123], a[44:45], v[92:93], v[120:123]// 000000003994: D3E10078 0DE2B92C
	v_mfma_f32_16x16x16_bf16 v[120:123], a[46:47], v[94:95], v[120:123]// 00000000399C: D3E10078 0DE2BD2E
	v_mfma_f32_16x16x16_bf16 v[124:127], a[48:49], v[80:81], 0 // 0000000039A4: D3E1007C 0A02A130
	buffer_load_dwordx4 a[88:91], v28, s[16:19], 0 offen offset:2048// 0000000039AC: E05C1800 8084581C
	v_mfma_f32_16x16x16_bf16 v[124:127], a[50:51], v[82:83], v[124:127]// 0000000039B4: D3E1007C 0DF2A532
	v_mfma_f32_16x16x16_bf16 v[124:127], a[52:53], v[84:85], v[124:127]// 0000000039BC: D3E1007C 0DF2A934
	v_mfma_f32_16x16x16_bf16 v[124:127], a[54:55], v[86:87], v[124:127]// 0000000039C4: D3E1007C 0DF2AD36
	v_mfma_f32_16x16x16_bf16 v[124:127], a[56:57], v[88:89], v[124:127]// 0000000039CC: D3E1007C 0DF2B138
	buffer_load_dwordx4 a[92:95], v28, s[16:19], 0 offen offset:3072// 0000000039D4: E05C1C00 80845C1C
	v_mfma_f32_16x16x16_bf16 v[124:127], a[58:59], v[90:91], v[124:127]// 0000000039DC: D3E1007C 0DF2B53A
	v_mfma_f32_16x16x16_bf16 v[124:127], a[60:61], v[92:93], v[124:127]// 0000000039E4: D3E1007C 0DF2B93C
	v_mfma_f32_16x16x16_bf16 v[124:127], a[62:63], v[94:95], v[124:127]// 0000000039EC: D3E1007C 0DF2BD3E
	buffer_load_dwordx4 a[96:99], v29, s[16:19], 0 offen       // 0000000039F4: E05C1000 8084601D
	s_nop 8                                                    // 0000000039FC: BF800008
	v_or_b32_dpp v112, v120, v112 row_shr:8 row_mask:0xf bank_mask:0xf bound_ctrl:1// 000000003A00: 28E0E0FA FF091878
	v_or_b32_dpp v113, v121, v113 row_shr:8 row_mask:0xf bank_mask:0xf bound_ctrl:1// 000000003A08: 28E2E2FA FF091879
	v_or_b32_dpp v114, v122, v114 row_shr:8 row_mask:0xf bank_mask:0xf bound_ctrl:1// 000000003A10: 28E4E4FA FF09187A
	v_or_b32_dpp v115, v123, v115 row_shr:8 row_mask:0xf bank_mask:0xf bound_ctrl:1// 000000003A18: 28E6E6FA FF09187B
	v_or_b32_dpp v116, v124, v116 row_shr:8 row_mask:0xf bank_mask:0xf bound_ctrl:1// 000000003A20: 28E8E8FA FF09187C
	v_or_b32_dpp v117, v125, v117 row_shr:8 row_mask:0xf bank_mask:0xf bound_ctrl:1// 000000003A28: 28EAEAFA FF09187D
	v_or_b32_dpp v118, v126, v118 row_shr:8 row_mask:0xf bank_mask:0xf bound_ctrl:1// 000000003A30: 28ECECFA FF09187E
	v_or_b32_dpp v119, v127, v119 row_shr:8 row_mask:0xf bank_mask:0xf bound_ctrl:1// 000000003A38: 28EEEEFA FF09187F
	buffer_load_dwordx4 a[100:103], v29, s[16:19], 0 offen offset:1024// 000000003A40: E05C1400 8084641D
	v_mov_b32_e32 v50, v112                                    // 000000003A48: 7E640370
	v_max3_f32 v50, v112, v113, v50                            // 000000003A4C: D1D30032 04CAE370
	v_max3_f32 v50, v114, v115, v50                            // 000000003A54: D1D30032 04CAE772
	v_max3_f32 v50, v116, v117, v50                            // 000000003A5C: D1D30032 04CAEB74
	v_max3_f32 v50, v118, v119, v50                            // 000000003A64: D1D30032 04CAEF76
	ds_write_b32 v11, v50                                      // 000000003A6C: D81A0000 0000320B
	buffer_load_dwordx4 a[104:107], v29, s[16:19], 0 offen offset:2048// 000000003A74: E05C1800 8084681D
	s_waitcnt lgkmcnt(0)                                       // 000000003A7C: BF8CC07F
	s_barrier                                                  // 000000003A80: BF8A0000
	ds_read_b32 v64, v10                                       // 000000003A84: D86C0000 4000000A
	buffer_load_dwordx4 a[108:111], v29, s[16:19], 0 offen offset:3072// 000000003A8C: E05C1C00 80846C1D
	ds_read_b32 v65, v10 offset:64                             // 000000003A94: D86C0040 4100000A
	ds_read_b32 v66, v10 offset:128                            // 000000003A9C: D86C0080 4200000A
	ds_read_b32 v67, v10 offset:192                            // 000000003AA4: D86C00C0 4300000A
	ds_read_b32 v68, v10 offset:256                            // 000000003AAC: D86C0100 4400000A
	ds_read_b32 v69, v10 offset:320                            // 000000003AB4: D86C0140 4500000A
	ds_read_b32 v70, v10 offset:384                            // 000000003ABC: D86C0180 4600000A
	ds_read_b32 v71, v10 offset:448                            // 000000003AC4: D86C01C0 4700000A
	ds_read_b32 v72, v10 offset:512                            // 000000003ACC: D86C0200 4800000A
	buffer_load_dwordx4 a[112:115], v30, s[16:19], 0 offen     // 000000003AD4: E05C1000 8084701E
	ds_read_b32 v73, v10 offset:576                            // 000000003ADC: D86C0240 4900000A
	ds_read_b32 v74, v10 offset:640                            // 000000003AE4: D86C0280 4A00000A
	ds_read_b32 v75, v10 offset:704                            // 000000003AEC: D86C02C0 4B00000A
	ds_read_b32 v76, v10 offset:768                            // 000000003AF4: D86C0300 4C00000A
	ds_read_b32 v77, v10 offset:832                            // 000000003AFC: D86C0340 4D00000A
	ds_read_b32 v78, v10 offset:896                            // 000000003B04: D86C0380 4E00000A
	ds_read_b32 v79, v10 offset:960                            // 000000003B0C: D86C03C0 4F00000A
	buffer_load_dwordx4 a[116:119], v30, s[16:19], 0 offen offset:1024// 000000003B14: E05C1400 8084741E
	buffer_load_dwordx4 a[120:123], v30, s[16:19], 0 offen offset:2048// 000000003B1C: E05C1800 8084781E
	s_waitcnt lgkmcnt(0)                                       // 000000003B24: BF8CC07F
	v_max3_f32 v50, v64, v65, v50                              // 000000003B28: D1D30032 04CA8340
	v_max3_f32 v50, v66, v67, v50                              // 000000003B30: D1D30032 04CA8742
	v_max3_f32 v50, v68, v69, v50                              // 000000003B38: D1D30032 04CA8B44
	v_max3_f32 v50, v70, v71, v50                              // 000000003B40: D1D30032 04CA8F46
	v_max3_f32 v50, v72, v73, v50                              // 000000003B48: D1D30032 04CA9348
	v_max3_f32 v50, v74, v75, v50                              // 000000003B50: D1D30032 04CA974A
	v_max3_f32 v50, v76, v77, v50                              // 000000003B58: D1D30032 04CA9B4C
	v_max3_f32 v50, v78, v79, v50                              // 000000003B60: D1D30032 04CA9F4E
	buffer_load_dwordx4 a[124:127], v30, s[16:19], 0 offen offset:3072// 000000003B68: E05C1C00 80847C1E
	v_cmp_eq_u32_e64 s[40:41], v55, v14                        // 000000003B70: D0CA0028 00021D37
	s_nop 1                                                    // 000000003B78: BF800001
	v_mov_b32_dpp v39, v50 row_ror:8 row_mask:0xf bank_mask:0xf// 000000003B7C: 7E4E02FA FF012832
	v_max_f32_e32 v50, v50, v39                                // 000000003B84: 16644F32
	v_max_f32_e32 v16, v50, v14                                // 000000003B88: 16201D32
	v_sub_f32_e32 v51, v14, v16                                // 000000003B8C: 0466210E
	v_cndmask_b32_e64 v51, v51, 0, s[40:41]                    // 000000003B90: D1000033 00A10133
	v_mov_b32_e32 v14, v16                                     // 000000003B98: 7E1C0310
	v_mul_f32_e32 v53, s64, v16                                // 000000003B9C: 0A6A2040
	v_mul_f32_e32 v51, s64, v51                                // 000000003BA0: 0A666640
	v_exp_f32_e32 v51, v51                                     // 000000003BA4: 7E664133
	buffer_load_dwordx4 a[192:195], v200, s[20:23], 0 offen    // 000000003BA8: E05C1000 8085C0C8
	v_fma_f32 v112, v112, s64, -v53                            // 000000003BB0: D1CB0070 84D48170
	v_fma_f32 v113, v113, s64, -v53                            // 000000003BB8: D1CB0071 84D48171
	v_fma_f32 v114, v114, s64, -v53                            // 000000003BC0: D1CB0072 84D48172
	v_fma_f32 v115, v115, s64, -v53                            // 000000003BC8: D1CB0073 84D48173
	v_fma_f32 v116, v116, s64, -v53                            // 000000003BD0: D1CB0074 84D48174
	v_fma_f32 v117, v117, s64, -v53                            // 000000003BD8: D1CB0075 84D48175
	v_fma_f32 v118, v118, s64, -v53                            // 000000003BE0: D1CB0076 84D48176
	v_fma_f32 v119, v119, s64, -v53                            // 000000003BE8: D1CB0077 84D48177
	v_exp_f32_e32 v112, v112                                   // 000000003BF0: 7EE04170
	v_exp_f32_e32 v113, v113                                   // 000000003BF4: 7EE24171
	v_exp_f32_e32 v114, v114                                   // 000000003BF8: 7EE44172
	v_exp_f32_e32 v115, v115                                   // 000000003BFC: 7EE64173
	v_exp_f32_e32 v116, v116                                   // 000000003C00: 7EE84174
	v_exp_f32_e32 v117, v117                                   // 000000003C04: 7EEA4175
	v_exp_f32_e32 v118, v118                                   // 000000003C08: 7EEC4176
	v_exp_f32_e32 v119, v119                                   // 000000003C0C: 7EEE4177
	buffer_load_dwordx4 a[196:199], v201, s[20:23], 0 offen    // 000000003C10: E05C1000 8085C4C9
	v_mul_f32_e32 v43, v51, v43                                // 000000003C18: 0A565733
	v_mov_b32_e32 v45, v112                                    // 000000003C1C: 7E5A0370
	v_add_f32_e32 v45, v113, v45                               // 000000003C20: 025A5B71
	v_add_f32_e32 v45, v114, v45                               // 000000003C24: 025A5B72
	v_add_f32_e32 v45, v115, v45                               // 000000003C28: 025A5B73
	v_add_f32_e32 v45, v116, v45                               // 000000003C2C: 025A5B74
	v_add_f32_e32 v45, v117, v45                               // 000000003C30: 025A5B75
	v_add_f32_e32 v45, v118, v45                               // 000000003C34: 025A5B76
	v_add_f32_e32 v45, v119, v45                               // 000000003C38: 025A5B77
	v_add_f32_e32 v43, v45, v43                                // 000000003C3C: 0256572D
	buffer_load_dwordx4 a[200:203], v202, s[20:23], 0 offen    // 000000003C40: E05C1000 8085C8CA
	v_cmp_u_f32_e64 s[40:41], v112, v112                       // 000000003C48: D0480028 0002E170
	v_add3_u32 v19, v112, v22, 1                               // 000000003C50: D1FF0013 02062D70
	v_cndmask_b32_e64 v39, v19, v21, s[40:41]                  // 000000003C58: D1000027 00A22B13
	v_cmp_u_f32_e64 s[40:41], v113, v113                       // 000000003C60: D0480028 0002E371
	v_add3_u32 v19, v113, v22, 1                               // 000000003C68: D1FF0013 02062D71
	v_cndmask_b32_e64 v40, v19, v21, s[40:41]                  // 000000003C70: D1000028 00A22B13
	v_perm_b32 v112, v40, v39, s52                             // 000000003C78: D1ED0070 00D24F28
	v_cmp_u_f32_e64 s[40:41], v114, v114                       // 000000003C80: D0480028 0002E572
	v_add3_u32 v19, v114, v22, 1                               // 000000003C88: D1FF0013 02062D72
	v_cndmask_b32_e64 v39, v19, v21, s[40:41]                  // 000000003C90: D1000027 00A22B13
	v_cmp_u_f32_e64 s[40:41], v115, v115                       // 000000003C98: D0480028 0002E773
	v_add3_u32 v19, v115, v22, 1                               // 000000003CA0: D1FF0013 02062D73
	v_cndmask_b32_e64 v40, v19, v21, s[40:41]                  // 000000003CA8: D1000028 00A22B13
	v_perm_b32 v113, v40, v39, s52                             // 000000003CB0: D1ED0071 00D24F28
	v_cmp_u_f32_e64 s[40:41], v116, v116                       // 000000003CB8: D0480028 0002E974
	v_add3_u32 v19, v116, v22, 1                               // 000000003CC0: D1FF0013 02062D74
	v_cndmask_b32_e64 v39, v19, v21, s[40:41]                  // 000000003CC8: D1000027 00A22B13
	v_cmp_u_f32_e64 s[40:41], v117, v117                       // 000000003CD0: D0480028 0002EB75
	v_add3_u32 v19, v117, v22, 1                               // 000000003CD8: D1FF0013 02062D75
	v_cndmask_b32_e64 v40, v19, v21, s[40:41]                  // 000000003CE0: D1000028 00A22B13
	v_perm_b32 v114, v40, v39, s52                             // 000000003CE8: D1ED0072 00D24F28
	v_cmp_u_f32_e64 s[40:41], v118, v118                       // 000000003CF0: D0480028 0002ED76
	v_add3_u32 v19, v118, v22, 1                               // 000000003CF8: D1FF0013 02062D76
	v_cndmask_b32_e64 v39, v19, v21, s[40:41]                  // 000000003D00: D1000027 00A22B13
	v_cmp_u_f32_e64 s[40:41], v119, v119                       // 000000003D08: D0480028 0002EF77
	v_add3_u32 v19, v119, v22, 1                               // 000000003D10: D1FF0013 02062D77
	v_cndmask_b32_e64 v40, v19, v21, s[40:41]                  // 000000003D18: D1000028 00A22B13
	v_perm_b32 v115, v40, v39, s52                             // 000000003D20: D1ED0073 00D24F28
	buffer_load_dwordx4 a[204:207], v203, s[20:23], 0 offen    // 000000003D28: E05C1000 8085CCCB
	buffer_load_dwordx4 a[208:211], v204, s[20:23], 0 offen    // 000000003D30: E05C1000 8085D0CC
	ds_write_b64 v13, v[112:113] offset:4096                   // 000000003D38: D89A1000 0000700D
	ds_write_b64 v13, v[114:115] offset:6144                   // 000000003D40: D89A1800 0000720D
	buffer_load_dwordx4 a[212:215], v205, s[20:23], 0 offen    // 000000003D48: E05C1000 8085D4CD
	s_waitcnt lgkmcnt(0)                                       // 000000003D50: BF8CC07F
	s_barrier                                                  // 000000003D54: BF8A0000
	ds_read_b64 v[112:113], v12 offset:4096                    // 000000003D58: D8EC1000 7000000C
	ds_read_b64 v[114:115], v12 offset:4224                    // 000000003D60: D8EC1080 7200000C
	ds_read_b64 v[116:117], v12 offset:5120                    // 000000003D68: D8EC1400 7400000C
	ds_read_b64 v[118:119], v12 offset:5248                    // 000000003D70: D8EC1480 7600000C
	ds_read_b64 v[120:121], v12 offset:6144                    // 000000003D78: D8EC1800 7800000C
	ds_read_b64 v[122:123], v12 offset:6272                    // 000000003D80: D8EC1880 7A00000C
	ds_read_b64 v[124:125], v12 offset:7168                    // 000000003D88: D8EC1C00 7C00000C
	ds_read_b64 v[126:127], v12 offset:7296                    // 000000003D90: D8EC1C80 7E00000C
	buffer_load_dwordx4 a[216:219], v206, s[20:23], 0 offen    // 000000003D98: E05C1000 8085D8CE
	s_waitcnt lgkmcnt(0)                                       // 000000003DA0: BF8CC07F
	v_mov_b32_dpp v128, v112 row_shl:8 row_mask:0xf bank_mask:0xf bound_ctrl:1// 000000003DA4: 7F0002FA FF090870
	v_and_b32_e32 v112, v112, v9                               // 000000003DAC: 26E01370
	v_mov_b32_dpp v129, v113 row_shl:8 row_mask:0xf bank_mask:0xf bound_ctrl:1// 000000003DB0: 7F0202FA FF090871
	v_and_b32_e32 v113, v113, v9                               // 000000003DB8: 26E21371
	v_mov_b32_dpp v130, v114 row_shl:8 row_mask:0xf bank_mask:0xf bound_ctrl:1// 000000003DBC: 7F0402FA FF090872
	v_and_b32_e32 v114, v114, v9                               // 000000003DC4: 26E41372
	v_mov_b32_dpp v131, v115 row_shl:8 row_mask:0xf bank_mask:0xf bound_ctrl:1// 000000003DC8: 7F0602FA FF090873
	v_and_b32_e32 v115, v115, v9                               // 000000003DD0: 26E61373
	v_mov_b32_dpp v132, v116 row_shl:8 row_mask:0xf bank_mask:0xf bound_ctrl:1// 000000003DD4: 7F0802FA FF090874
	v_and_b32_e32 v116, v116, v9                               // 000000003DDC: 26E81374
	v_mov_b32_dpp v133, v117 row_shl:8 row_mask:0xf bank_mask:0xf bound_ctrl:1// 000000003DE0: 7F0A02FA FF090875
	v_and_b32_e32 v117, v117, v9                               // 000000003DE8: 26EA1375
	v_mov_b32_dpp v134, v118 row_shl:8 row_mask:0xf bank_mask:0xf bound_ctrl:1// 000000003DEC: 7F0C02FA FF090876
	v_and_b32_e32 v118, v118, v9                               // 000000003DF4: 26EC1376
	v_mov_b32_dpp v135, v119 row_shl:8 row_mask:0xf bank_mask:0xf bound_ctrl:1// 000000003DF8: 7F0E02FA FF090877
	v_and_b32_e32 v119, v119, v9                               // 000000003E00: 26EE1377
	v_mov_b32_dpp v136, v120 row_shl:8 row_mask:0xf bank_mask:0xf bound_ctrl:1// 000000003E04: 7F1002FA FF090878
	v_and_b32_e32 v120, v120, v9                               // 000000003E0C: 26F01378
	v_mov_b32_dpp v137, v121 row_shl:8 row_mask:0xf bank_mask:0xf bound_ctrl:1// 000000003E10: 7F1202FA FF090879
	v_and_b32_e32 v121, v121, v9                               // 000000003E18: 26F21379
	v_mov_b32_dpp v138, v122 row_shl:8 row_mask:0xf bank_mask:0xf bound_ctrl:1// 000000003E1C: 7F1402FA FF09087A
	v_and_b32_e32 v122, v122, v9                               // 000000003E24: 26F4137A
	v_mov_b32_dpp v139, v123 row_shl:8 row_mask:0xf bank_mask:0xf bound_ctrl:1// 000000003E28: 7F1602FA FF09087B
	v_and_b32_e32 v123, v123, v9                               // 000000003E30: 26F6137B
	v_mov_b32_dpp v140, v124 row_shl:8 row_mask:0xf bank_mask:0xf bound_ctrl:1// 000000003E34: 7F1802FA FF09087C
	v_and_b32_e32 v124, v124, v9                               // 000000003E3C: 26F8137C
	v_mov_b32_dpp v141, v125 row_shl:8 row_mask:0xf bank_mask:0xf bound_ctrl:1// 000000003E40: 7F1A02FA FF09087D
	v_and_b32_e32 v125, v125, v9                               // 000000003E48: 26FA137D
	v_mov_b32_dpp v142, v126 row_shl:8 row_mask:0xf bank_mask:0xf bound_ctrl:1// 000000003E4C: 7F1C02FA FF09087E
	v_and_b32_e32 v126, v126, v9                               // 000000003E54: 26FC137E
	v_mov_b32_dpp v143, v127 row_shl:8 row_mask:0xf bank_mask:0xf bound_ctrl:1// 000000003E58: 7F1E02FA FF09087F
	v_and_b32_e32 v127, v127, v9                               // 000000003E60: 26FE137F
	buffer_load_dwordx4 a[220:223], v207, s[20:23], 0 offen    // 000000003E64: E05C1000 8085DCCF
	v_mul_f32_e32 v176, v51, v176                              // 000000003E6C: 0B616133
	v_mul_f32_e32 v177, v51, v177                              // 000000003E70: 0B636333
	v_mul_f32_e32 v178, v51, v178                              // 000000003E74: 0B656533
	v_mul_f32_e32 v179, v51, v179                              // 000000003E78: 0B676733
	v_mul_f32_e32 v180, v51, v180                              // 000000003E7C: 0B696933
	v_mul_f32_e32 v181, v51, v181                              // 000000003E80: 0B6B6B33
	v_mul_f32_e32 v182, v51, v182                              // 000000003E84: 0B6D6D33
	v_mul_f32_e32 v183, v51, v183                              // 000000003E88: 0B6F6F33
	s_waitcnt vmcnt(24)                                        // 000000003E8C: BF8C4F78
	v_mfma_f32_16x16x16_bf16 v[176:179], a[128:129], v[112:113], v[176:179]// 000000003E90: D3E100B0 0EC2E180
	buffer_load_dwordx4 a[224:227], v200, s[20:23], 0 offen offset:1024// 000000003E98: E05C1400 8085E0C8
	v_mfma_f32_16x16x16_bf16 v[176:179], a[130:131], v[114:115], v[176:179]// 000000003EA0: D3E100B0 0EC2E582
	v_mfma_f32_16x16x16_bf16 v[176:179], a[132:133], v[116:117], v[176:179]// 000000003EA8: D3E100B0 0EC2E984
	v_mfma_f32_16x16x16_bf16 v[176:179], a[134:135], v[118:119], v[176:179]// 000000003EB0: D3E100B0 0EC2ED86
	v_mfma_f32_16x16x16_bf16 v[176:179], a[136:137], v[120:121], v[176:179]// 000000003EB8: D3E100B0 0EC2F188
	buffer_load_dwordx4 a[228:231], v201, s[20:23], 0 offen offset:1024// 000000003EC0: E05C1400 8085E4C9
	v_mfma_f32_16x16x16_bf16 v[176:179], a[138:139], v[122:123], v[176:179]// 000000003EC8: D3E100B0 0EC2F58A
	v_mfma_f32_16x16x16_bf16 v[176:179], a[140:141], v[124:125], v[176:179]// 000000003ED0: D3E100B0 0EC2F98C
	v_mfma_f32_16x16x16_bf16 v[176:179], a[142:143], v[126:127], v[176:179]// 000000003ED8: D3E100B0 0EC2FD8E
	v_mfma_f32_16x16x16_bf16 v[176:179], a[144:145], v[128:129], v[176:179]// 000000003EE0: D3E100B0 0EC30190
	buffer_load_dwordx4 a[232:235], v202, s[20:23], 0 offen offset:1024// 000000003EE8: E05C1400 8085E8CA
	v_mfma_f32_16x16x16_bf16 v[176:179], a[146:147], v[130:131], v[176:179]// 000000003EF0: D3E100B0 0EC30592
	v_mfma_f32_16x16x16_bf16 v[176:179], a[148:149], v[132:133], v[176:179]// 000000003EF8: D3E100B0 0EC30994
	v_mfma_f32_16x16x16_bf16 v[176:179], a[150:151], v[134:135], v[176:179]// 000000003F00: D3E100B0 0EC30D96
	v_mfma_f32_16x16x16_bf16 v[176:179], a[152:153], v[136:137], v[176:179]// 000000003F08: D3E100B0 0EC31198
	buffer_load_dwordx4 a[236:239], v203, s[20:23], 0 offen offset:1024// 000000003F10: E05C1400 8085ECCB
	v_mfma_f32_16x16x16_bf16 v[176:179], a[154:155], v[138:139], v[176:179]// 000000003F18: D3E100B0 0EC3159A
	v_mfma_f32_16x16x16_bf16 v[176:179], a[156:157], v[140:141], v[176:179]// 000000003F20: D3E100B0 0EC3199C
	v_mfma_f32_16x16x16_bf16 v[176:179], a[158:159], v[142:143], v[176:179]// 000000003F28: D3E100B0 0EC31D9E
	v_mfma_f32_16x16x16_bf16 v[180:183], a[160:161], v[112:113], v[180:183]// 000000003F30: D3E100B4 0ED2E1A0
	buffer_load_dwordx4 a[240:243], v204, s[20:23], 0 offen offset:1024// 000000003F38: E05C1400 8085F0CC
	v_mfma_f32_16x16x16_bf16 v[180:183], a[162:163], v[114:115], v[180:183]// 000000003F40: D3E100B4 0ED2E5A2
	v_mfma_f32_16x16x16_bf16 v[180:183], a[164:165], v[116:117], v[180:183]// 000000003F48: D3E100B4 0ED2E9A4
	v_mfma_f32_16x16x16_bf16 v[180:183], a[166:167], v[118:119], v[180:183]// 000000003F50: D3E100B4 0ED2EDA6
	v_mfma_f32_16x16x16_bf16 v[180:183], a[168:169], v[120:121], v[180:183]// 000000003F58: D3E100B4 0ED2F1A8
	buffer_load_dwordx4 a[244:247], v205, s[20:23], 0 offen offset:1024// 000000003F60: E05C1400 8085F4CD
	v_mfma_f32_16x16x16_bf16 v[180:183], a[170:171], v[122:123], v[180:183]// 000000003F68: D3E100B4 0ED2F5AA
	v_mfma_f32_16x16x16_bf16 v[180:183], a[172:173], v[124:125], v[180:183]// 000000003F70: D3E100B4 0ED2F9AC
	v_mfma_f32_16x16x16_bf16 v[180:183], a[174:175], v[126:127], v[180:183]// 000000003F78: D3E100B4 0ED2FDAE
	v_mfma_f32_16x16x16_bf16 v[180:183], a[176:177], v[128:129], v[180:183]// 000000003F80: D3E100B4 0ED301B0
	buffer_load_dwordx4 a[248:251], v206, s[20:23], 0 offen offset:1024// 000000003F88: E05C1400 8085F8CE
	v_mfma_f32_16x16x16_bf16 v[180:183], a[178:179], v[130:131], v[180:183]// 000000003F90: D3E100B4 0ED305B2
	v_mfma_f32_16x16x16_bf16 v[180:183], a[180:181], v[132:133], v[180:183]// 000000003F98: D3E100B4 0ED309B4
	v_mfma_f32_16x16x16_bf16 v[180:183], a[182:183], v[134:135], v[180:183]// 000000003FA0: D3E100B4 0ED30DB6
	v_mfma_f32_16x16x16_bf16 v[180:183], a[184:185], v[136:137], v[180:183]// 000000003FA8: D3E100B4 0ED311B8
	buffer_load_dwordx4 a[252:255], v207, s[20:23], 0 offen offset:1024// 000000003FB0: E05C1400 8085FCCF
	v_mfma_f32_16x16x16_bf16 v[180:183], a[186:187], v[138:139], v[180:183]// 000000003FB8: D3E100B4 0ED315BA
	v_mfma_f32_16x16x16_bf16 v[180:183], a[188:189], v[140:141], v[180:183]// 000000003FC0: D3E100B4 0ED319BC
	v_mfma_f32_16x16x16_bf16 v[180:183], a[190:191], v[142:143], v[180:183]// 000000003FC8: D3E100B4 0ED31DBE
	s_lshr_b32 s60, s70, 4                                     // 000000003FD0: 8F3C8446
	s_add_u32 s60, 48, s60                                     // 000000003FD4: 803C3CB0
	s_cmp_ge_u32 s60, s73                                      // 000000003FD8: BF09493C
	s_cselect_b32 s56, 0, s56                                  // 000000003FDC: 85383880
	v_mul_u32_u24_dpp v39, v17, v54 row_newbcast:0 row_mask:0xf bank_mask:0xf// 000000003FE0: 104E6CFA FF015011
	v_mul_u32_u24_dpp v40, v17, v54 row_newbcast:4 row_mask:0xf bank_mask:0xf// 000000003FE8: 10506CFA FF015411
	v_mul_u32_u24_dpp v41, v17, v54 row_newbcast:8 row_mask:0xf bank_mask:0xf// 000000003FF0: 10526CFA FF015811
	v_mul_u32_u24_dpp v42, v17, v54 row_newbcast:12 row_mask:0xf bank_mask:0xf// 000000003FF8: 10546CFA FF015C11
	v_add_u32_e32 v23, v39, v6                                 // 000000004000: 682E0D27
	v_add_u32_e32 v24, v40, v6                                 // 000000004004: 68300D28
	v_add_u32_e32 v25, v41, v6                                 // 000000004008: 68320D29
	v_add_u32_e32 v26, v42, v6                                 // 00000000400C: 68340D2A
	v_mul_u32_u24_dpp v39, v17, v54 row_newbcast:1 row_mask:0xf bank_mask:0xf// 000000004010: 104E6CFA FF015111
	v_mul_u32_u24_dpp v40, v17, v54 row_newbcast:2 row_mask:0xf bank_mask:0xf// 000000004018: 10506CFA FF015211
	v_mul_u32_u24_dpp v41, v17, v54 row_newbcast:5 row_mask:0xf bank_mask:0xf// 000000004020: 10526CFA FF015511
	v_mul_u32_u24_dpp v42, v17, v54 row_newbcast:6 row_mask:0xf bank_mask:0xf// 000000004028: 10546CFA FF015611
	v_add_u32_e32 v192, v39, v7                                // 000000004030: 69800F27
	v_add_u32_e32 v193, v40, v7                                // 000000004034: 69820F28
	v_add_u32_e32 v194, v41, v7                                // 000000004038: 69840F29
	v_add_u32_e32 v195, v42, v7                                // 00000000403C: 69860F2A
	v_mul_u32_u24_dpp v39, v17, v54 row_newbcast:9 row_mask:0xf bank_mask:0xf// 000000004040: 104E6CFA FF015911
	v_mul_u32_u24_dpp v40, v17, v54 row_newbcast:10 row_mask:0xf bank_mask:0xf// 000000004048: 10506CFA FF015A11
	v_mul_u32_u24_dpp v41, v17, v54 row_newbcast:13 row_mask:0xf bank_mask:0xf// 000000004050: 10526CFA FF015D11
	v_mul_u32_u24_dpp v42, v17, v54 row_newbcast:7 row_mask:0xf bank_mask:0xf// 000000004058: 10546CFA FF015711
	v_add_u32_e32 v196, v39, v7                                // 000000004060: 69880F27
	v_add_u32_e32 v197, v40, v7                                // 000000004064: 698A0F28
	v_add_u32_e32 v198, v41, v7                                // 000000004068: 698C0F29
	v_add_u32_e32 v199, v42, v7                                // 00000000406C: 698E0F2A
	v_add_u32_e32 v1, s56, v1                                  // 000000004070: 68020238
	s_addk_i32 s70, 0x100                                      // 000000004074: B7460100
	s_cmp_lt_i32 s70, s71                                      // 000000004078: BF044746
	s_cbranch_scc0 label_05A7                                  // 00000000407C: BF84FE07
	s_waitcnt vmcnt(16) lgkmcnt(0)                             // 000000004080: BF8C4070
	v_mfma_f32_16x16x16_bf16 v[112:115], a[64:65], v[80:81], 0 // 000000004084: D3E10070 0A02A140
	buffer_load_dwordx4 a[0:3], v23, s[16:19], 0 offen         // 00000000408C: E05C1000 80840017
	v_mfma_f32_16x16x16_bf16 v[112:115], a[66:67], v[82:83], v[112:115]// 000000004094: D3E10070 0DC2A542
	v_mfma_f32_16x16x16_bf16 v[112:115], a[68:69], v[84:85], v[112:115]// 00000000409C: D3E10070 0DC2A944
	buffer_load_dword v18, v1, s[24:27], 0 offen               // 0000000040A4: E0501000 80061201
	v_mfma_f32_16x16x16_bf16 v[112:115], a[70:71], v[86:87], v[112:115]// 0000000040AC: D3E10070 0DC2AD46
	v_mfma_f32_16x16x16_bf16 v[112:115], a[72:73], v[88:89], v[112:115]// 0000000040B4: D3E10070 0DC2B148
	buffer_load_dwordx4 a[4:7], v23, s[16:19], 0 offen offset:1024// 0000000040BC: E05C1400 80840417
	v_mfma_f32_16x16x16_bf16 v[112:115], a[74:75], v[90:91], v[112:115]// 0000000040C4: D3E10070 0DC2B54A
	v_mfma_f32_16x16x16_bf16 v[112:115], a[76:77], v[92:93], v[112:115]// 0000000040CC: D3E10070 0DC2B94C
	v_mfma_f32_16x16x16_bf16 v[112:115], a[78:79], v[94:95], v[112:115]// 0000000040D4: D3E10070 0DC2BD4E
	v_mfma_f32_16x16x16_bf16 v[116:119], a[80:81], v[80:81], 0 // 0000000040DC: D3E10074 0A02A150
	buffer_load_dwordx4 a[8:11], v23, s[16:19], 0 offen offset:2048// 0000000040E4: E05C1800 80840817
	v_mfma_f32_16x16x16_bf16 v[116:119], a[82:83], v[82:83], v[116:119]// 0000000040EC: D3E10074 0DD2A552
	v_mfma_f32_16x16x16_bf16 v[116:119], a[84:85], v[84:85], v[116:119]// 0000000040F4: D3E10074 0DD2A954
	v_mfma_f32_16x16x16_bf16 v[116:119], a[86:87], v[86:87], v[116:119]// 0000000040FC: D3E10074 0DD2AD56
	v_mfma_f32_16x16x16_bf16 v[116:119], a[88:89], v[88:89], v[116:119]// 000000004104: D3E10074 0DD2B158
	buffer_load_dwordx4 a[12:15], v23, s[16:19], 0 offen offset:3072// 00000000410C: E05C1C00 80840C17
	v_mfma_f32_16x16x16_bf16 v[116:119], a[90:91], v[90:91], v[116:119]// 000000004114: D3E10074 0DD2B55A
	v_mfma_f32_16x16x16_bf16 v[116:119], a[92:93], v[92:93], v[116:119]// 00000000411C: D3E10074 0DD2B95C
	v_mfma_f32_16x16x16_bf16 v[116:119], a[94:95], v[94:95], v[116:119]// 000000004124: D3E10074 0DD2BD5E
	v_mfma_f32_16x16x16_bf16 v[120:123], a[96:97], v[80:81], 0 // 00000000412C: D3E10078 0A02A160
	buffer_load_dwordx4 a[16:19], v24, s[16:19], 0 offen       // 000000004134: E05C1000 80841018
	v_mfma_f32_16x16x16_bf16 v[120:123], a[98:99], v[82:83], v[120:123]// 00000000413C: D3E10078 0DE2A562
	v_mfma_f32_16x16x16_bf16 v[120:123], a[100:101], v[84:85], v[120:123]// 000000004144: D3E10078 0DE2A964
	v_mfma_f32_16x16x16_bf16 v[120:123], a[102:103], v[86:87], v[120:123]// 00000000414C: D3E10078 0DE2AD66
	v_mfma_f32_16x16x16_bf16 v[120:123], a[104:105], v[88:89], v[120:123]// 000000004154: D3E10078 0DE2B168
	buffer_load_dwordx4 a[20:23], v24, s[16:19], 0 offen offset:1024// 00000000415C: E05C1400 80841418
	v_mfma_f32_16x16x16_bf16 v[120:123], a[106:107], v[90:91], v[120:123]// 000000004164: D3E10078 0DE2B56A
	v_mfma_f32_16x16x16_bf16 v[120:123], a[108:109], v[92:93], v[120:123]// 00000000416C: D3E10078 0DE2B96C
	v_mfma_f32_16x16x16_bf16 v[120:123], a[110:111], v[94:95], v[120:123]// 000000004174: D3E10078 0DE2BD6E
	v_mfma_f32_16x16x16_bf16 v[124:127], a[112:113], v[80:81], 0// 00000000417C: D3E1007C 0A02A170
	buffer_load_dwordx4 a[24:27], v24, s[16:19], 0 offen offset:2048// 000000004184: E05C1800 80841818
	v_mfma_f32_16x16x16_bf16 v[124:127], a[114:115], v[82:83], v[124:127]// 00000000418C: D3E1007C 0DF2A572
	v_mfma_f32_16x16x16_bf16 v[124:127], a[116:117], v[84:85], v[124:127]// 000000004194: D3E1007C 0DF2A974
	v_mfma_f32_16x16x16_bf16 v[124:127], a[118:119], v[86:87], v[124:127]// 00000000419C: D3E1007C 0DF2AD76
	v_mfma_f32_16x16x16_bf16 v[124:127], a[120:121], v[88:89], v[124:127]// 0000000041A4: D3E1007C 0DF2B178
	buffer_load_dwordx4 a[28:31], v24, s[16:19], 0 offen offset:3072// 0000000041AC: E05C1C00 80841C18
	v_mfma_f32_16x16x16_bf16 v[124:127], a[122:123], v[90:91], v[124:127]// 0000000041B4: D3E1007C 0DF2B57A
	v_mfma_f32_16x16x16_bf16 v[124:127], a[124:125], v[92:93], v[124:127]// 0000000041BC: D3E1007C 0DF2B97C
	v_mfma_f32_16x16x16_bf16 v[124:127], a[126:127], v[94:95], v[124:127]// 0000000041C4: D3E1007C 0DF2BD7E
	buffer_load_dwordx4 a[32:35], v25, s[16:19], 0 offen       // 0000000041CC: E05C1000 80842019
	s_nop 8                                                    // 0000000041D4: BF800008
	v_or_b32_dpp v112, v120, v112 row_shr:8 row_mask:0xf bank_mask:0xf bound_ctrl:1// 0000000041D8: 28E0E0FA FF091878
	v_or_b32_dpp v113, v121, v113 row_shr:8 row_mask:0xf bank_mask:0xf bound_ctrl:1// 0000000041E0: 28E2E2FA FF091879
	v_or_b32_dpp v114, v122, v114 row_shr:8 row_mask:0xf bank_mask:0xf bound_ctrl:1// 0000000041E8: 28E4E4FA FF09187A
	v_or_b32_dpp v115, v123, v115 row_shr:8 row_mask:0xf bank_mask:0xf bound_ctrl:1// 0000000041F0: 28E6E6FA FF09187B
	v_or_b32_dpp v116, v124, v116 row_shr:8 row_mask:0xf bank_mask:0xf bound_ctrl:1// 0000000041F8: 28E8E8FA FF09187C
	v_or_b32_dpp v117, v125, v117 row_shr:8 row_mask:0xf bank_mask:0xf bound_ctrl:1// 000000004200: 28EAEAFA FF09187D
	v_or_b32_dpp v118, v126, v118 row_shr:8 row_mask:0xf bank_mask:0xf bound_ctrl:1// 000000004208: 28ECECFA FF09187E
	v_or_b32_dpp v119, v127, v119 row_shr:8 row_mask:0xf bank_mask:0xf bound_ctrl:1// 000000004210: 28EEEEFA FF09187F
	buffer_load_dwordx4 a[36:39], v25, s[16:19], 0 offen offset:1024// 000000004218: E05C1400 80842419
	v_mov_b32_e32 v50, v112                                    // 000000004220: 7E640370
	v_max3_f32 v50, v112, v113, v50                            // 000000004224: D1D30032 04CAE370
	v_max3_f32 v50, v114, v115, v50                            // 00000000422C: D1D30032 04CAE772
	v_max3_f32 v50, v116, v117, v50                            // 000000004234: D1D30032 04CAEB74
	v_max3_f32 v50, v118, v119, v50                            // 00000000423C: D1D30032 04CAEF76
	ds_write_b32 v11, v50                                      // 000000004244: D81A0000 0000320B
	buffer_load_dwordx4 a[40:43], v25, s[16:19], 0 offen offset:2048// 00000000424C: E05C1800 80842819
	s_waitcnt lgkmcnt(0)                                       // 000000004254: BF8CC07F
	s_barrier                                                  // 000000004258: BF8A0000
	ds_read_b32 v64, v10                                       // 00000000425C: D86C0000 4000000A
	buffer_load_dwordx4 a[44:47], v25, s[16:19], 0 offen offset:3072// 000000004264: E05C1C00 80842C19
	ds_read_b32 v65, v10 offset:64                             // 00000000426C: D86C0040 4100000A
	ds_read_b32 v66, v10 offset:128                            // 000000004274: D86C0080 4200000A
	ds_read_b32 v67, v10 offset:192                            // 00000000427C: D86C00C0 4300000A
	ds_read_b32 v68, v10 offset:256                            // 000000004284: D86C0100 4400000A
	ds_read_b32 v69, v10 offset:320                            // 00000000428C: D86C0140 4500000A
	ds_read_b32 v70, v10 offset:384                            // 000000004294: D86C0180 4600000A
	ds_read_b32 v71, v10 offset:448                            // 00000000429C: D86C01C0 4700000A
	ds_read_b32 v72, v10 offset:512                            // 0000000042A4: D86C0200 4800000A
	buffer_load_dwordx4 a[48:51], v26, s[16:19], 0 offen       // 0000000042AC: E05C1000 8084301A
	ds_read_b32 v73, v10 offset:576                            // 0000000042B4: D86C0240 4900000A
	ds_read_b32 v74, v10 offset:640                            // 0000000042BC: D86C0280 4A00000A
	ds_read_b32 v75, v10 offset:704                            // 0000000042C4: D86C02C0 4B00000A
	ds_read_b32 v76, v10 offset:768                            // 0000000042CC: D86C0300 4C00000A
	ds_read_b32 v77, v10 offset:832                            // 0000000042D4: D86C0340 4D00000A
	ds_read_b32 v78, v10 offset:896                            // 0000000042DC: D86C0380 4E00000A
	ds_read_b32 v79, v10 offset:960                            // 0000000042E4: D86C03C0 4F00000A
	buffer_load_dwordx4 a[52:55], v26, s[16:19], 0 offen offset:1024// 0000000042EC: E05C1400 8084341A
	buffer_load_dwordx4 a[56:59], v26, s[16:19], 0 offen offset:2048// 0000000042F4: E05C1800 8084381A
	s_waitcnt lgkmcnt(0)                                       // 0000000042FC: BF8CC07F
	v_max3_f32 v50, v64, v65, v50                              // 000000004300: D1D30032 04CA8340
	v_max3_f32 v50, v66, v67, v50                              // 000000004308: D1D30032 04CA8742
	v_max3_f32 v50, v68, v69, v50                              // 000000004310: D1D30032 04CA8B44
	v_max3_f32 v50, v70, v71, v50                              // 000000004318: D1D30032 04CA8F46
	v_max3_f32 v50, v72, v73, v50                              // 000000004320: D1D30032 04CA9348
	v_max3_f32 v50, v74, v75, v50                              // 000000004328: D1D30032 04CA974A
	v_max3_f32 v50, v76, v77, v50                              // 000000004330: D1D30032 04CA9B4C
	v_max3_f32 v50, v78, v79, v50                              // 000000004338: D1D30032 04CA9F4E
	buffer_load_dwordx4 a[60:63], v26, s[16:19], 0 offen offset:3072// 000000004340: E05C1C00 80843C1A
	v_cmp_eq_u32_e64 s[40:41], v55, v14                        // 000000004348: D0CA0028 00021D37
	s_nop 1                                                    // 000000004350: BF800001
	v_mov_b32_dpp v39, v50 row_ror:8 row_mask:0xf bank_mask:0xf// 000000004354: 7E4E02FA FF012832
	v_max_f32_e32 v50, v50, v39                                // 00000000435C: 16644F32
	v_max_f32_e32 v16, v50, v14                                // 000000004360: 16201D32
	v_sub_f32_e32 v51, v14, v16                                // 000000004364: 0466210E
	v_cndmask_b32_e64 v51, v51, 0, s[40:41]                    // 000000004368: D1000033 00A10133
	v_mov_b32_e32 v14, v16                                     // 000000004370: 7E1C0310
	v_mul_f32_e32 v53, s64, v16                                // 000000004374: 0A6A2040
	v_mul_f32_e32 v51, s64, v51                                // 000000004378: 0A666640
	v_exp_f32_e32 v51, v51                                     // 00000000437C: 7E664133
	buffer_load_dwordx4 a[128:131], v192, s[20:23], 0 offen    // 000000004380: E05C1000 808580C0
	v_fma_f32 v112, v112, s64, -v53                            // 000000004388: D1CB0070 84D48170
	v_fma_f32 v113, v113, s64, -v53                            // 000000004390: D1CB0071 84D48171
	v_fma_f32 v114, v114, s64, -v53                            // 000000004398: D1CB0072 84D48172
	v_fma_f32 v115, v115, s64, -v53                            // 0000000043A0: D1CB0073 84D48173
	v_fma_f32 v116, v116, s64, -v53                            // 0000000043A8: D1CB0074 84D48174
	v_fma_f32 v117, v117, s64, -v53                            // 0000000043B0: D1CB0075 84D48175
	v_fma_f32 v118, v118, s64, -v53                            // 0000000043B8: D1CB0076 84D48176
	v_fma_f32 v119, v119, s64, -v53                            // 0000000043C0: D1CB0077 84D48177
	v_exp_f32_e32 v112, v112                                   // 0000000043C8: 7EE04170
	v_exp_f32_e32 v113, v113                                   // 0000000043CC: 7EE24171
	v_exp_f32_e32 v114, v114                                   // 0000000043D0: 7EE44172
	v_exp_f32_e32 v115, v115                                   // 0000000043D4: 7EE64173
	v_exp_f32_e32 v116, v116                                   // 0000000043D8: 7EE84174
	v_exp_f32_e32 v117, v117                                   // 0000000043DC: 7EEA4175
	v_exp_f32_e32 v118, v118                                   // 0000000043E0: 7EEC4176
	v_exp_f32_e32 v119, v119                                   // 0000000043E4: 7EEE4177
	buffer_load_dwordx4 a[132:135], v193, s[20:23], 0 offen    // 0000000043E8: E05C1000 808584C1
	v_mul_f32_e32 v43, v51, v43                                // 0000000043F0: 0A565733
	v_mov_b32_e32 v45, v112                                    // 0000000043F4: 7E5A0370
	v_add_f32_e32 v45, v113, v45                               // 0000000043F8: 025A5B71
	v_add_f32_e32 v45, v114, v45                               // 0000000043FC: 025A5B72
	v_add_f32_e32 v45, v115, v45                               // 000000004400: 025A5B73
	v_add_f32_e32 v45, v116, v45                               // 000000004404: 025A5B74
	v_add_f32_e32 v45, v117, v45                               // 000000004408: 025A5B75
	v_add_f32_e32 v45, v118, v45                               // 00000000440C: 025A5B76
	v_add_f32_e32 v45, v119, v45                               // 000000004410: 025A5B77
	v_add_f32_e32 v43, v45, v43                                // 000000004414: 0256572D
	buffer_load_dwordx4 a[136:139], v194, s[20:23], 0 offen    // 000000004418: E05C1000 808588C2
	v_cmp_u_f32_e64 s[40:41], v112, v112                       // 000000004420: D0480028 0002E170
	v_add3_u32 v19, v112, v22, 1                               // 000000004428: D1FF0013 02062D70
	v_cndmask_b32_e64 v39, v19, v21, s[40:41]                  // 000000004430: D1000027 00A22B13
	v_cmp_u_f32_e64 s[40:41], v113, v113                       // 000000004438: D0480028 0002E371
	v_add3_u32 v19, v113, v22, 1                               // 000000004440: D1FF0013 02062D71
	v_cndmask_b32_e64 v40, v19, v21, s[40:41]                  // 000000004448: D1000028 00A22B13
	v_perm_b32 v112, v40, v39, s52                             // 000000004450: D1ED0070 00D24F28
	v_cmp_u_f32_e64 s[40:41], v114, v114                       // 000000004458: D0480028 0002E572
	v_add3_u32 v19, v114, v22, 1                               // 000000004460: D1FF0013 02062D72
	v_cndmask_b32_e64 v39, v19, v21, s[40:41]                  // 000000004468: D1000027 00A22B13
	v_cmp_u_f32_e64 s[40:41], v115, v115                       // 000000004470: D0480028 0002E773
	v_add3_u32 v19, v115, v22, 1                               // 000000004478: D1FF0013 02062D73
	v_cndmask_b32_e64 v40, v19, v21, s[40:41]                  // 000000004480: D1000028 00A22B13
	v_perm_b32 v113, v40, v39, s52                             // 000000004488: D1ED0071 00D24F28
	v_cmp_u_f32_e64 s[40:41], v116, v116                       // 000000004490: D0480028 0002E974
	v_add3_u32 v19, v116, v22, 1                               // 000000004498: D1FF0013 02062D74
	v_cndmask_b32_e64 v39, v19, v21, s[40:41]                  // 0000000044A0: D1000027 00A22B13
	v_cmp_u_f32_e64 s[40:41], v117, v117                       // 0000000044A8: D0480028 0002EB75
	v_add3_u32 v19, v117, v22, 1                               // 0000000044B0: D1FF0013 02062D75
	v_cndmask_b32_e64 v40, v19, v21, s[40:41]                  // 0000000044B8: D1000028 00A22B13
	v_perm_b32 v114, v40, v39, s52                             // 0000000044C0: D1ED0072 00D24F28
	v_cmp_u_f32_e64 s[40:41], v118, v118                       // 0000000044C8: D0480028 0002ED76
	v_add3_u32 v19, v118, v22, 1                               // 0000000044D0: D1FF0013 02062D76
	v_cndmask_b32_e64 v39, v19, v21, s[40:41]                  // 0000000044D8: D1000027 00A22B13
	v_cmp_u_f32_e64 s[40:41], v119, v119                       // 0000000044E0: D0480028 0002EF77
	v_add3_u32 v19, v119, v22, 1                               // 0000000044E8: D1FF0013 02062D77
	v_cndmask_b32_e64 v40, v19, v21, s[40:41]                  // 0000000044F0: D1000028 00A22B13
	v_perm_b32 v115, v40, v39, s52                             // 0000000044F8: D1ED0073 00D24F28
	buffer_load_dwordx4 a[140:143], v195, s[20:23], 0 offen    // 000000004500: E05C1000 80858CC3
	buffer_load_dwordx4 a[144:147], v196, s[20:23], 0 offen    // 000000004508: E05C1000 808590C4
	ds_write_b64 v13, v[112:113] offset:4096                   // 000000004510: D89A1000 0000700D
	ds_write_b64 v13, v[114:115] offset:6144                   // 000000004518: D89A1800 0000720D
	buffer_load_dwordx4 a[148:151], v197, s[20:23], 0 offen    // 000000004520: E05C1000 808594C5
	s_waitcnt lgkmcnt(0)                                       // 000000004528: BF8CC07F
	s_barrier                                                  // 00000000452C: BF8A0000
	ds_read_b64 v[112:113], v12 offset:4096                    // 000000004530: D8EC1000 7000000C
	ds_read_b64 v[114:115], v12 offset:4224                    // 000000004538: D8EC1080 7200000C
	ds_read_b64 v[116:117], v12 offset:5120                    // 000000004540: D8EC1400 7400000C
	ds_read_b64 v[118:119], v12 offset:5248                    // 000000004548: D8EC1480 7600000C
	ds_read_b64 v[120:121], v12 offset:6144                    // 000000004550: D8EC1800 7800000C
	ds_read_b64 v[122:123], v12 offset:6272                    // 000000004558: D8EC1880 7A00000C
	ds_read_b64 v[124:125], v12 offset:7168                    // 000000004560: D8EC1C00 7C00000C
	ds_read_b64 v[126:127], v12 offset:7296                    // 000000004568: D8EC1C80 7E00000C
	buffer_load_dwordx4 a[152:155], v198, s[20:23], 0 offen    // 000000004570: E05C1000 808598C6
	s_waitcnt lgkmcnt(0)                                       // 000000004578: BF8CC07F
	v_mov_b32_dpp v128, v112 row_shl:8 row_mask:0xf bank_mask:0xf bound_ctrl:1// 00000000457C: 7F0002FA FF090870
	v_and_b32_e32 v112, v112, v9                               // 000000004584: 26E01370
	v_mov_b32_dpp v129, v113 row_shl:8 row_mask:0xf bank_mask:0xf bound_ctrl:1// 000000004588: 7F0202FA FF090871
	v_and_b32_e32 v113, v113, v9                               // 000000004590: 26E21371
	v_mov_b32_dpp v130, v114 row_shl:8 row_mask:0xf bank_mask:0xf bound_ctrl:1// 000000004594: 7F0402FA FF090872
	v_and_b32_e32 v114, v114, v9                               // 00000000459C: 26E41372
	v_mov_b32_dpp v131, v115 row_shl:8 row_mask:0xf bank_mask:0xf bound_ctrl:1// 0000000045A0: 7F0602FA FF090873
	v_and_b32_e32 v115, v115, v9                               // 0000000045A8: 26E61373
	v_mov_b32_dpp v132, v116 row_shl:8 row_mask:0xf bank_mask:0xf bound_ctrl:1// 0000000045AC: 7F0802FA FF090874
	v_and_b32_e32 v116, v116, v9                               // 0000000045B4: 26E81374
	v_mov_b32_dpp v133, v117 row_shl:8 row_mask:0xf bank_mask:0xf bound_ctrl:1// 0000000045B8: 7F0A02FA FF090875
	v_and_b32_e32 v117, v117, v9                               // 0000000045C0: 26EA1375
	v_mov_b32_dpp v134, v118 row_shl:8 row_mask:0xf bank_mask:0xf bound_ctrl:1// 0000000045C4: 7F0C02FA FF090876
	v_and_b32_e32 v118, v118, v9                               // 0000000045CC: 26EC1376
	v_mov_b32_dpp v135, v119 row_shl:8 row_mask:0xf bank_mask:0xf bound_ctrl:1// 0000000045D0: 7F0E02FA FF090877
	v_and_b32_e32 v119, v119, v9                               // 0000000045D8: 26EE1377
	v_mov_b32_dpp v136, v120 row_shl:8 row_mask:0xf bank_mask:0xf bound_ctrl:1// 0000000045DC: 7F1002FA FF090878
	v_and_b32_e32 v120, v120, v9                               // 0000000045E4: 26F01378
	v_mov_b32_dpp v137, v121 row_shl:8 row_mask:0xf bank_mask:0xf bound_ctrl:1// 0000000045E8: 7F1202FA FF090879
	v_and_b32_e32 v121, v121, v9                               // 0000000045F0: 26F21379
	v_mov_b32_dpp v138, v122 row_shl:8 row_mask:0xf bank_mask:0xf bound_ctrl:1// 0000000045F4: 7F1402FA FF09087A
	v_and_b32_e32 v122, v122, v9                               // 0000000045FC: 26F4137A
	v_mov_b32_dpp v139, v123 row_shl:8 row_mask:0xf bank_mask:0xf bound_ctrl:1// 000000004600: 7F1602FA FF09087B
	v_and_b32_e32 v123, v123, v9                               // 000000004608: 26F6137B
	v_mov_b32_dpp v140, v124 row_shl:8 row_mask:0xf bank_mask:0xf bound_ctrl:1// 00000000460C: 7F1802FA FF09087C
	v_and_b32_e32 v124, v124, v9                               // 000000004614: 26F8137C
	v_mov_b32_dpp v141, v125 row_shl:8 row_mask:0xf bank_mask:0xf bound_ctrl:1// 000000004618: 7F1A02FA FF09087D
	v_and_b32_e32 v125, v125, v9                               // 000000004620: 26FA137D
	v_mov_b32_dpp v142, v126 row_shl:8 row_mask:0xf bank_mask:0xf bound_ctrl:1// 000000004624: 7F1C02FA FF09087E
	v_and_b32_e32 v126, v126, v9                               // 00000000462C: 26FC137E
	v_mov_b32_dpp v143, v127 row_shl:8 row_mask:0xf bank_mask:0xf bound_ctrl:1// 000000004630: 7F1E02FA FF09087F
	v_and_b32_e32 v127, v127, v9                               // 000000004638: 26FE137F
	buffer_load_dwordx4 a[156:159], v199, s[20:23], 0 offen    // 00000000463C: E05C1000 80859CC7
	v_mul_f32_e32 v176, v51, v176                              // 000000004644: 0B616133
	v_mul_f32_e32 v177, v51, v177                              // 000000004648: 0B636333
	v_mul_f32_e32 v178, v51, v178                              // 00000000464C: 0B656533
	v_mul_f32_e32 v179, v51, v179                              // 000000004650: 0B676733
	v_mul_f32_e32 v180, v51, v180                              // 000000004654: 0B696933
	v_mul_f32_e32 v181, v51, v181                              // 000000004658: 0B6B6B33
	v_mul_f32_e32 v182, v51, v182                              // 00000000465C: 0B6D6D33
	v_mul_f32_e32 v183, v51, v183                              // 000000004660: 0B6F6F33
	s_waitcnt vmcnt(24)                                        // 000000004664: BF8C4F78
	v_mfma_f32_16x16x16_bf16 v[176:179], a[192:193], v[112:113], v[176:179]// 000000004668: D3E100B0 0EC2E1C0
	buffer_load_dwordx4 a[160:163], v192, s[20:23], 0 offen offset:1024// 000000004670: E05C1400 8085A0C0
	v_mfma_f32_16x16x16_bf16 v[176:179], a[194:195], v[114:115], v[176:179]// 000000004678: D3E100B0 0EC2E5C2
	v_mfma_f32_16x16x16_bf16 v[176:179], a[196:197], v[116:117], v[176:179]// 000000004680: D3E100B0 0EC2E9C4
	v_mfma_f32_16x16x16_bf16 v[176:179], a[198:199], v[118:119], v[176:179]// 000000004688: D3E100B0 0EC2EDC6
	v_mfma_f32_16x16x16_bf16 v[176:179], a[200:201], v[120:121], v[176:179]// 000000004690: D3E100B0 0EC2F1C8
	buffer_load_dwordx4 a[164:167], v193, s[20:23], 0 offen offset:1024// 000000004698: E05C1400 8085A4C1
	v_mfma_f32_16x16x16_bf16 v[176:179], a[202:203], v[122:123], v[176:179]// 0000000046A0: D3E100B0 0EC2F5CA
	v_mfma_f32_16x16x16_bf16 v[176:179], a[204:205], v[124:125], v[176:179]// 0000000046A8: D3E100B0 0EC2F9CC
	v_mfma_f32_16x16x16_bf16 v[176:179], a[206:207], v[126:127], v[176:179]// 0000000046B0: D3E100B0 0EC2FDCE
	v_mfma_f32_16x16x16_bf16 v[176:179], a[208:209], v[128:129], v[176:179]// 0000000046B8: D3E100B0 0EC301D0
	buffer_load_dwordx4 a[168:171], v194, s[20:23], 0 offen offset:1024// 0000000046C0: E05C1400 8085A8C2
	v_mfma_f32_16x16x16_bf16 v[176:179], a[210:211], v[130:131], v[176:179]// 0000000046C8: D3E100B0 0EC305D2
	v_mfma_f32_16x16x16_bf16 v[176:179], a[212:213], v[132:133], v[176:179]// 0000000046D0: D3E100B0 0EC309D4
	v_mfma_f32_16x16x16_bf16 v[176:179], a[214:215], v[134:135], v[176:179]// 0000000046D8: D3E100B0 0EC30DD6
	v_mfma_f32_16x16x16_bf16 v[176:179], a[216:217], v[136:137], v[176:179]// 0000000046E0: D3E100B0 0EC311D8
	buffer_load_dwordx4 a[172:175], v195, s[20:23], 0 offen offset:1024// 0000000046E8: E05C1400 8085ACC3
	v_mfma_f32_16x16x16_bf16 v[176:179], a[218:219], v[138:139], v[176:179]// 0000000046F0: D3E100B0 0EC315DA
	v_mfma_f32_16x16x16_bf16 v[176:179], a[220:221], v[140:141], v[176:179]// 0000000046F8: D3E100B0 0EC319DC
	v_mfma_f32_16x16x16_bf16 v[176:179], a[222:223], v[142:143], v[176:179]// 000000004700: D3E100B0 0EC31DDE
	v_mfma_f32_16x16x16_bf16 v[180:183], a[224:225], v[112:113], v[180:183]// 000000004708: D3E100B4 0ED2E1E0
	buffer_load_dwordx4 a[176:179], v196, s[20:23], 0 offen offset:1024// 000000004710: E05C1400 8085B0C4
	v_mfma_f32_16x16x16_bf16 v[180:183], a[226:227], v[114:115], v[180:183]// 000000004718: D3E100B4 0ED2E5E2
	v_mfma_f32_16x16x16_bf16 v[180:183], a[228:229], v[116:117], v[180:183]// 000000004720: D3E100B4 0ED2E9E4
	v_mfma_f32_16x16x16_bf16 v[180:183], a[230:231], v[118:119], v[180:183]// 000000004728: D3E100B4 0ED2EDE6
	v_mfma_f32_16x16x16_bf16 v[180:183], a[232:233], v[120:121], v[180:183]// 000000004730: D3E100B4 0ED2F1E8
	buffer_load_dwordx4 a[180:183], v197, s[20:23], 0 offen offset:1024// 000000004738: E05C1400 8085B4C5
	v_mfma_f32_16x16x16_bf16 v[180:183], a[234:235], v[122:123], v[180:183]// 000000004740: D3E100B4 0ED2F5EA
	v_mfma_f32_16x16x16_bf16 v[180:183], a[236:237], v[124:125], v[180:183]// 000000004748: D3E100B4 0ED2F9EC
	v_mfma_f32_16x16x16_bf16 v[180:183], a[238:239], v[126:127], v[180:183]// 000000004750: D3E100B4 0ED2FDEE
	v_mfma_f32_16x16x16_bf16 v[180:183], a[240:241], v[128:129], v[180:183]// 000000004758: D3E100B4 0ED301F0
	buffer_load_dwordx4 a[184:187], v198, s[20:23], 0 offen offset:1024// 000000004760: E05C1400 8085B8C6
	v_mfma_f32_16x16x16_bf16 v[180:183], a[242:243], v[130:131], v[180:183]// 000000004768: D3E100B4 0ED305F2
	v_mfma_f32_16x16x16_bf16 v[180:183], a[244:245], v[132:133], v[180:183]// 000000004770: D3E100B4 0ED309F4
	v_mfma_f32_16x16x16_bf16 v[180:183], a[246:247], v[134:135], v[180:183]// 000000004778: D3E100B4 0ED30DF6
	v_mfma_f32_16x16x16_bf16 v[180:183], a[248:249], v[136:137], v[180:183]// 000000004780: D3E100B4 0ED311F8
	buffer_load_dwordx4 a[188:191], v199, s[20:23], 0 offen offset:1024// 000000004788: E05C1400 8085BCC7
	v_mfma_f32_16x16x16_bf16 v[180:183], a[250:251], v[138:139], v[180:183]// 000000004790: D3E100B4 0ED315FA
	v_mfma_f32_16x16x16_bf16 v[180:183], a[252:253], v[140:141], v[180:183]// 000000004798: D3E100B4 0ED319FC
	v_mfma_f32_16x16x16_bf16 v[180:183], a[254:255], v[142:143], v[180:183]// 0000000047A0: D3E100B4 0ED31DFE
	s_lshr_b32 s60, s70, 4                                     // 0000000047A8: 8F3C8446
	s_add_u32 s60, 48, s60                                     // 0000000047AC: 803C3CB0
	s_cmp_ge_u32 s60, s73                                      // 0000000047B0: BF09493C
	s_cselect_b32 s56, 0, s56                                  // 0000000047B4: 85383880
	v_mul_u32_u24_dpp v39, v18, v54 row_newbcast:0 row_mask:0xf bank_mask:0xf// 0000000047B8: 104E6CFA FF015012
	v_mul_u32_u24_dpp v40, v18, v54 row_newbcast:4 row_mask:0xf bank_mask:0xf// 0000000047C0: 10506CFA FF015412
	v_mul_u32_u24_dpp v41, v18, v54 row_newbcast:8 row_mask:0xf bank_mask:0xf// 0000000047C8: 10526CFA FF015812
	v_mul_u32_u24_dpp v42, v18, v54 row_newbcast:12 row_mask:0xf bank_mask:0xf// 0000000047D0: 10546CFA FF015C12
	v_add_u32_e32 v27, v39, v6                                 // 0000000047D8: 68360D27
	v_add_u32_e32 v28, v40, v6                                 // 0000000047DC: 68380D28
	v_add_u32_e32 v29, v41, v6                                 // 0000000047E0: 683A0D29
	v_add_u32_e32 v30, v42, v6                                 // 0000000047E4: 683C0D2A
	v_mul_u32_u24_dpp v39, v18, v54 row_newbcast:1 row_mask:0xf bank_mask:0xf// 0000000047E8: 104E6CFA FF015112
	v_mul_u32_u24_dpp v40, v18, v54 row_newbcast:2 row_mask:0xf bank_mask:0xf// 0000000047F0: 10506CFA FF015212
	v_mul_u32_u24_dpp v41, v18, v54 row_newbcast:5 row_mask:0xf bank_mask:0xf// 0000000047F8: 10526CFA FF015512
	v_mul_u32_u24_dpp v42, v18, v54 row_newbcast:6 row_mask:0xf bank_mask:0xf// 000000004800: 10546CFA FF015612
	v_add_u32_e32 v200, v39, v7                                // 000000004808: 69900F27
	v_add_u32_e32 v201, v40, v7                                // 00000000480C: 69920F28
	v_add_u32_e32 v202, v41, v7                                // 000000004810: 69940F29
	v_add_u32_e32 v203, v42, v7                                // 000000004814: 69960F2A
	v_mul_u32_u24_dpp v39, v18, v54 row_newbcast:9 row_mask:0xf bank_mask:0xf// 000000004818: 104E6CFA FF015912
	v_mul_u32_u24_dpp v40, v18, v54 row_newbcast:10 row_mask:0xf bank_mask:0xf// 000000004820: 10506CFA FF015A12
	v_mul_u32_u24_dpp v41, v18, v54 row_newbcast:13 row_mask:0xf bank_mask:0xf// 000000004828: 10526CFA FF015D12
	v_mul_u32_u24_dpp v42, v18, v54 row_newbcast:7 row_mask:0xf bank_mask:0xf// 000000004830: 10546CFA FF015712
	v_add_u32_e32 v204, v39, v7                                // 000000004838: 69980F27
	v_add_u32_e32 v205, v40, v7                                // 00000000483C: 699A0F28
	v_add_u32_e32 v206, v41, v7                                // 000000004840: 699C0F29
	v_add_u32_e32 v207, v42, v7                                // 000000004844: 699E0F2A
	v_add_u32_e32 v1, s56, v1                                  // 000000004848: 68020238
	s_addk_i32 s70, 0x100                                      // 00000000484C: B7460100
	s_cmp_lt_i32 s70, s71                                      // 000000004850: BF044746
	s_cbranch_scc0 label_05A7                                  // 000000004854: BF84FC11
	s_branch label_05AA                                        // 000000004858: BF82FC13

000000000000485c <label_0997>:
	s_lshr_b32 s60, s71, 4                                     // 00000000485C: 8F3C8447
	s_cmp_eq_i32 s60, s73                                      // 000000004860: BF00493C
	s_cbranch_scc1 label_0F21                                  // 000000004864: BF850586
	s_and_b32 s60, s72, 0xff                                   // 000000004868: 863CFF48 000000FF
	s_cmp_le_i32 s60, 64                                       // 000000004870: BF05C03C
	s_cbranch_scc0 label_0B2D                                  // 000000004874: BF84018E
	s_lshr_b32 s60, s71, 8                                     // 000000004878: 8F3C8847
	s_and_b32 s60, s60, 1                                      // 00000000487C: 863C813C
	s_cmp_eq_i32 s60, 1                                        // 000000004880: BF00813C
	s_cbranch_scc1 label_0A67                                  // 000000004884: BF8500C5
	s_waitcnt vmcnt(16) lgkmcnt(0)                             // 000000004888: BF8C4070
	v_mfma_f32_16x16x16_bf16 v[112:115], a[0:1], v[80:81], 0   // 00000000488C: D3E10070 0A02A100
	v_mfma_f32_16x16x16_bf16 v[112:115], a[2:3], v[82:83], v[112:115]// 000000004894: D3E10070 0DC2A502
	v_mfma_f32_16x16x16_bf16 v[112:115], a[4:5], v[84:85], v[112:115]// 00000000489C: D3E10070 0DC2A904
	v_mfma_f32_16x16x16_bf16 v[112:115], a[6:7], v[86:87], v[112:115]// 0000000048A4: D3E10070 0DC2AD06
	v_mfma_f32_16x16x16_bf16 v[112:115], a[8:9], v[88:89], v[112:115]// 0000000048AC: D3E10070 0DC2B108
	v_mfma_f32_16x16x16_bf16 v[112:115], a[10:11], v[90:91], v[112:115]// 0000000048B4: D3E10070 0DC2B50A
	v_mfma_f32_16x16x16_bf16 v[112:115], a[12:13], v[92:93], v[112:115]// 0000000048BC: D3E10070 0DC2B90C
	v_mfma_f32_16x16x16_bf16 v[112:115], a[14:15], v[94:95], v[112:115]// 0000000048C4: D3E10070 0DC2BD0E
	s_and_b32 s60, s72, 0xff                                   // 0000000048CC: 863CFF48 000000FF
	v_mov_b32_e32 v56, s60                                     // 0000000048D4: 7E70023C
	v_lshrrev_b32_e32 v31, 4, v0                               // 0000000048D8: 203E0084
	v_mul_i32_i24_e32 v31, 4, v31                              // 0000000048DC: 0C3E3E84
	s_mul_i32 s60, s7, 16                                      // 0000000048E0: 923C9007
	v_add_u32_e32 v31, s60, v31                                // 0000000048E4: 683E3E3C
	v_add_u32_e32 v32, 1, v31                                  // 0000000048E8: 68403E81
	v_add_u32_e32 v33, 2, v31                                  // 0000000048EC: 68423E82
	v_add_u32_e32 v34, 3, v31                                  // 0000000048F0: 68443E83
	v_and_b32_e32 v39, v55, v9                                 // 0000000048F4: 264E1337
	v_cmp_lt_u32_e64 s[40:41], v31, v56                        // 0000000048F8: D0C90028 0002711F
	v_add_u32_e32 v31, 64, v31                                 // 000000004900: 683E3EC0
	s_nop 0                                                    // 000000004904: BF800000
	v_cndmask_b32_e64 v112, v39, v112, s[40:41]                // 000000004908: D1000070 00A2E127
	v_cmp_lt_u32_e64 s[40:41], v32, v56                        // 000000004910: D0C90028 00027120
	v_add_u32_e32 v32, 64, v32                                 // 000000004918: 684040C0
	s_nop 0                                                    // 00000000491C: BF800000
	v_cndmask_b32_e64 v113, v39, v113, s[40:41]                // 000000004920: D1000071 00A2E327
	v_cmp_lt_u32_e64 s[40:41], v33, v56                        // 000000004928: D0C90028 00027121
	v_add_u32_e32 v33, 64, v33                                 // 000000004930: 684242C0
	s_nop 0                                                    // 000000004934: BF800000
	v_cndmask_b32_e64 v114, v39, v114, s[40:41]                // 000000004938: D1000072 00A2E527
	v_cmp_lt_u32_e64 s[40:41], v34, v56                        // 000000004940: D0C90028 00027122
	v_add_u32_e32 v34, 64, v34                                 // 000000004948: 684444C0
	s_nop 0                                                    // 00000000494C: BF800000
	v_cndmask_b32_e64 v115, v39, v115, s[40:41]                // 000000004950: D1000073 00A2E727
	s_nop 1                                                    // 000000004958: BF800001
	v_or_b32_dpp v112, v114, v112 row_shr:8 row_mask:0xf bank_mask:0xf bound_ctrl:1// 00000000495C: 28E0E0FA FF091872
	v_or_b32_dpp v113, v115, v113 row_shr:8 row_mask:0xf bank_mask:0xf bound_ctrl:1// 000000004964: 28E2E2FA FF091873
	v_max_f32_e32 v50, v112, v113                              // 00000000496C: 1664E370
	ds_write_b32 v11, v50                                      // 000000004970: D81A0000 0000320B
	s_waitcnt lgkmcnt(0)                                       // 000000004978: BF8CC07F
	s_barrier                                                  // 00000000497C: BF8A0000
	ds_read_b32 v64, v10                                       // 000000004980: D86C0000 4000000A
	ds_read_b32 v65, v10 offset:64                             // 000000004988: D86C0040 4100000A
	ds_read_b32 v66, v10 offset:128                            // 000000004990: D86C0080 4200000A
	ds_read_b32 v67, v10 offset:192                            // 000000004998: D86C00C0 4300000A
	ds_read_b32 v68, v10 offset:256                            // 0000000049A0: D86C0100 4400000A
	ds_read_b32 v69, v10 offset:320                            // 0000000049A8: D86C0140 4500000A
	ds_read_b32 v70, v10 offset:384                            // 0000000049B0: D86C0180 4600000A
	ds_read_b32 v71, v10 offset:448                            // 0000000049B8: D86C01C0 4700000A
	ds_read_b32 v72, v10 offset:512                            // 0000000049C0: D86C0200 4800000A
	ds_read_b32 v73, v10 offset:576                            // 0000000049C8: D86C0240 4900000A
	ds_read_b32 v74, v10 offset:640                            // 0000000049D0: D86C0280 4A00000A
	ds_read_b32 v75, v10 offset:704                            // 0000000049D8: D86C02C0 4B00000A
	ds_read_b32 v76, v10 offset:768                            // 0000000049E0: D86C0300 4C00000A
	ds_read_b32 v77, v10 offset:832                            // 0000000049E8: D86C0340 4D00000A
	ds_read_b32 v78, v10 offset:896                            // 0000000049F0: D86C0380 4E00000A
	ds_read_b32 v79, v10 offset:960                            // 0000000049F8: D86C03C0 4F00000A
	s_waitcnt lgkmcnt(0)                                       // 000000004A00: BF8CC07F
	v_max3_f32 v50, v64, v65, v50                              // 000000004A04: D1D30032 04CA8340
	v_max3_f32 v50, v66, v67, v50                              // 000000004A0C: D1D30032 04CA8742
	v_max3_f32 v50, v68, v69, v50                              // 000000004A14: D1D30032 04CA8B44
	v_max3_f32 v50, v70, v71, v50                              // 000000004A1C: D1D30032 04CA8F46
	v_max3_f32 v50, v72, v73, v50                              // 000000004A24: D1D30032 04CA9348
	v_max3_f32 v50, v74, v75, v50                              // 000000004A2C: D1D30032 04CA974A
	v_max3_f32 v50, v76, v77, v50                              // 000000004A34: D1D30032 04CA9B4C
	v_max3_f32 v50, v78, v79, v50                              // 000000004A3C: D1D30032 04CA9F4E
	s_nop 1                                                    // 000000004A44: BF800001
	v_mov_b32_dpp v39, v50 row_ror:8 row_mask:0xf bank_mask:0xf// 000000004A48: 7E4E02FA FF012832
	v_max_f32_e32 v50, v50, v39                                // 000000004A50: 16644F32
	v_max_f32_e32 v16, v50, v14                                // 000000004A54: 16201D32
	v_sub_f32_e32 v51, v14, v16                                // 000000004A58: 0466210E
	v_mov_b32_e32 v14, v16                                     // 000000004A5C: 7E1C0310
	v_mul_f32_e32 v53, s64, v16                                // 000000004A60: 0A6A2040
	v_mul_f32_e32 v51, s64, v51                                // 000000004A64: 0A666640
	v_exp_f32_e32 v51, v51                                     // 000000004A68: 7E664133
	v_fma_f32 v112, v112, s64, -v53                            // 000000004A6C: D1CB0070 84D48170
	v_fma_f32 v113, v113, s64, -v53                            // 000000004A74: D1CB0071 84D48171
	v_exp_f32_e32 v112, v112                                   // 000000004A7C: 7EE04170
	v_exp_f32_e32 v113, v113                                   // 000000004A80: 7EE24171
	v_mul_f32_e32 v43, v51, v43                                // 000000004A84: 0A565733
	v_mov_b32_e32 v45, v112                                    // 000000004A88: 7E5A0370
	v_add_f32_e32 v45, v113, v45                               // 000000004A8C: 025A5B71
	v_add_f32_e32 v43, v45, v43                                // 000000004A90: 0256572D
	v_cmp_u_f32_e64 s[40:41], v112, v112                       // 000000004A94: D0480028 0002E170
	v_add3_u32 v19, v112, v22, 1                               // 000000004A9C: D1FF0013 02062D70
	v_cndmask_b32_e64 v39, v19, v21, s[40:41]                  // 000000004AA4: D1000027 00A22B13
	v_cmp_u_f32_e64 s[40:41], v113, v113                       // 000000004AAC: D0480028 0002E371
	v_add3_u32 v19, v113, v22, 1                               // 000000004AB4: D1FF0013 02062D71
	v_cndmask_b32_e64 v40, v19, v21, s[40:41]                  // 000000004ABC: D1000028 00A22B13
	v_perm_b32 v112, v40, v39, s52                             // 000000004AC4: D1ED0070 00D24F28
	ds_write_b64 v13, v[112:113] offset:4096                   // 000000004ACC: D89A1000 0000700D
	s_waitcnt lgkmcnt(0)                                       // 000000004AD4: BF8CC07F
	s_barrier                                                  // 000000004AD8: BF8A0000
	ds_read_b64 v[112:113], v12 offset:4096                    // 000000004ADC: D8EC1000 7000000C
	ds_read_b64 v[114:115], v12 offset:4224                    // 000000004AE4: D8EC1080 7200000C
	ds_read_b64 v[116:117], v12 offset:5120                    // 000000004AEC: D8EC1400 7400000C
	ds_read_b64 v[118:119], v12 offset:5248                    // 000000004AF4: D8EC1480 7600000C
	s_waitcnt lgkmcnt(0)                                       // 000000004AFC: BF8CC07F
	v_mov_b32_dpp v113, v112 row_shl:8 row_mask:0xf bank_mask:0xf bound_ctrl:1// 000000004B00: 7EE202FA FF090870
	v_and_b32_e32 v112, v112, v9                               // 000000004B08: 26E01370
	v_mov_b32_dpp v115, v114 row_shl:8 row_mask:0xf bank_mask:0xf bound_ctrl:1// 000000004B0C: 7EE602FA FF090872
	v_and_b32_e32 v114, v114, v9                               // 000000004B14: 26E41372
	v_mov_b32_dpp v117, v116 row_shl:8 row_mask:0xf bank_mask:0xf bound_ctrl:1// 000000004B18: 7EEA02FA FF090874
	v_and_b32_e32 v116, v116, v9                               // 000000004B20: 26E81374
	v_mov_b32_dpp v119, v118 row_shl:8 row_mask:0xf bank_mask:0xf bound_ctrl:1// 000000004B24: 7EEE02FA FF090876
	v_and_b32_e32 v118, v118, v9                               // 000000004B2C: 26EC1376
	v_mul_f32_e32 v176, v51, v176                              // 000000004B30: 0B616133
	v_mul_f32_e32 v177, v51, v177                              // 000000004B34: 0B636333
	v_mul_f32_e32 v178, v51, v178                              // 000000004B38: 0B656533
	v_mul_f32_e32 v179, v51, v179                              // 000000004B3C: 0B676733
	v_mul_f32_e32 v180, v51, v180                              // 000000004B40: 0B696933
	v_mul_f32_e32 v181, v51, v181                              // 000000004B44: 0B6B6B33
	v_mul_f32_e32 v182, v51, v182                              // 000000004B48: 0B6D6D33
	v_mul_f32_e32 v183, v51, v183                              // 000000004B4C: 0B6F6F33
	s_waitcnt vmcnt(0)                                         // 000000004B50: BF8C0F70
	v_mfma_f32_16x16x16_bf16 v[176:179], a[128:129], v[112:113], v[176:179]// 000000004B54: D3E100B0 0EC2E180
	v_mfma_f32_16x16x16_bf16 v[176:179], a[130:131], v[114:115], v[176:179]// 000000004B5C: D3E100B0 0EC2E582
	v_mfma_f32_16x16x16_bf16 v[176:179], a[132:133], v[116:117], v[176:179]// 000000004B64: D3E100B0 0EC2E984
	v_mfma_f32_16x16x16_bf16 v[176:179], a[134:135], v[118:119], v[176:179]// 000000004B6C: D3E100B0 0EC2ED86
	v_mfma_f32_16x16x16_bf16 v[180:183], a[160:161], v[112:113], v[180:183]// 000000004B74: D3E100B4 0ED2E1A0
	v_mfma_f32_16x16x16_bf16 v[180:183], a[162:163], v[114:115], v[180:183]// 000000004B7C: D3E100B4 0ED2E5A2
	v_mfma_f32_16x16x16_bf16 v[180:183], a[164:165], v[116:117], v[180:183]// 000000004B84: D3E100B4 0ED2E9A4
	v_mfma_f32_16x16x16_bf16 v[180:183], a[166:167], v[118:119], v[180:183]// 000000004B8C: D3E100B4 0ED2EDA6
	s_nop 8                                                    // 000000004B94: BF800008
	s_branch label_0F21                                        // 000000004B98: BF8204B9

0000000000004b9c <label_0A67>:
	s_waitcnt vmcnt(16) lgkmcnt(0)                             // 000000004B9C: BF8C4070
	v_mfma_f32_16x16x16_bf16 v[112:115], a[64:65], v[80:81], 0 // 000000004BA0: D3E10070 0A02A140
	v_mfma_f32_16x16x16_bf16 v[112:115], a[66:67], v[82:83], v[112:115]// 000000004BA8: D3E10070 0DC2A542
	v_mfma_f32_16x16x16_bf16 v[112:115], a[68:69], v[84:85], v[112:115]// 000000004BB0: D3E10070 0DC2A944
	v_mfma_f32_16x16x16_bf16 v[112:115], a[70:71], v[86:87], v[112:115]// 000000004BB8: D3E10070 0DC2AD46
	v_mfma_f32_16x16x16_bf16 v[112:115], a[72:73], v[88:89], v[112:115]// 000000004BC0: D3E10070 0DC2B148
	v_mfma_f32_16x16x16_bf16 v[112:115], a[74:75], v[90:91], v[112:115]// 000000004BC8: D3E10070 0DC2B54A
	v_mfma_f32_16x16x16_bf16 v[112:115], a[76:77], v[92:93], v[112:115]// 000000004BD0: D3E10070 0DC2B94C
	v_mfma_f32_16x16x16_bf16 v[112:115], a[78:79], v[94:95], v[112:115]// 000000004BD8: D3E10070 0DC2BD4E
	s_and_b32 s60, s72, 0xff                                   // 000000004BE0: 863CFF48 000000FF
	v_mov_b32_e32 v56, s60                                     // 000000004BE8: 7E70023C
	v_lshrrev_b32_e32 v31, 4, v0                               // 000000004BEC: 203E0084
	v_mul_i32_i24_e32 v31, 4, v31                              // 000000004BF0: 0C3E3E84
	s_mul_i32 s60, s7, 16                                      // 000000004BF4: 923C9007
	v_add_u32_e32 v31, s60, v31                                // 000000004BF8: 683E3E3C
	v_add_u32_e32 v32, 1, v31                                  // 000000004BFC: 68403E81
	v_add_u32_e32 v33, 2, v31                                  // 000000004C00: 68423E82
	v_add_u32_e32 v34, 3, v31                                  // 000000004C04: 68443E83
	v_and_b32_e32 v39, v55, v9                                 // 000000004C08: 264E1337
	v_cmp_lt_u32_e64 s[40:41], v31, v56                        // 000000004C0C: D0C90028 0002711F
	v_add_u32_e32 v31, 64, v31                                 // 000000004C14: 683E3EC0
	s_nop 0                                                    // 000000004C18: BF800000
	v_cndmask_b32_e64 v112, v39, v112, s[40:41]                // 000000004C1C: D1000070 00A2E127
	v_cmp_lt_u32_e64 s[40:41], v32, v56                        // 000000004C24: D0C90028 00027120
	v_add_u32_e32 v32, 64, v32                                 // 000000004C2C: 684040C0
	s_nop 0                                                    // 000000004C30: BF800000
	v_cndmask_b32_e64 v113, v39, v113, s[40:41]                // 000000004C34: D1000071 00A2E327
	v_cmp_lt_u32_e64 s[40:41], v33, v56                        // 000000004C3C: D0C90028 00027121
	v_add_u32_e32 v33, 64, v33                                 // 000000004C44: 684242C0
	s_nop 0                                                    // 000000004C48: BF800000
	v_cndmask_b32_e64 v114, v39, v114, s[40:41]                // 000000004C4C: D1000072 00A2E527
	v_cmp_lt_u32_e64 s[40:41], v34, v56                        // 000000004C54: D0C90028 00027122
	v_add_u32_e32 v34, 64, v34                                 // 000000004C5C: 684444C0
	s_nop 0                                                    // 000000004C60: BF800000
	v_cndmask_b32_e64 v115, v39, v115, s[40:41]                // 000000004C64: D1000073 00A2E727
	s_nop 1                                                    // 000000004C6C: BF800001
	v_or_b32_dpp v112, v114, v112 row_shr:8 row_mask:0xf bank_mask:0xf bound_ctrl:1// 000000004C70: 28E0E0FA FF091872
	v_or_b32_dpp v113, v115, v113 row_shr:8 row_mask:0xf bank_mask:0xf bound_ctrl:1// 000000004C78: 28E2E2FA FF091873
	v_max_f32_e32 v50, v112, v113                              // 000000004C80: 1664E370
	ds_write_b32 v11, v50                                      // 000000004C84: D81A0000 0000320B
	s_waitcnt lgkmcnt(0)                                       // 000000004C8C: BF8CC07F
	s_barrier                                                  // 000000004C90: BF8A0000
	ds_read_b32 v64, v10                                       // 000000004C94: D86C0000 4000000A
	ds_read_b32 v65, v10 offset:64                             // 000000004C9C: D86C0040 4100000A
	ds_read_b32 v66, v10 offset:128                            // 000000004CA4: D86C0080 4200000A
	ds_read_b32 v67, v10 offset:192                            // 000000004CAC: D86C00C0 4300000A
	ds_read_b32 v68, v10 offset:256                            // 000000004CB4: D86C0100 4400000A
	ds_read_b32 v69, v10 offset:320                            // 000000004CBC: D86C0140 4500000A
	ds_read_b32 v70, v10 offset:384                            // 000000004CC4: D86C0180 4600000A
	ds_read_b32 v71, v10 offset:448                            // 000000004CCC: D86C01C0 4700000A
	ds_read_b32 v72, v10 offset:512                            // 000000004CD4: D86C0200 4800000A
	ds_read_b32 v73, v10 offset:576                            // 000000004CDC: D86C0240 4900000A
	ds_read_b32 v74, v10 offset:640                            // 000000004CE4: D86C0280 4A00000A
	ds_read_b32 v75, v10 offset:704                            // 000000004CEC: D86C02C0 4B00000A
	ds_read_b32 v76, v10 offset:768                            // 000000004CF4: D86C0300 4C00000A
	ds_read_b32 v77, v10 offset:832                            // 000000004CFC: D86C0340 4D00000A
	ds_read_b32 v78, v10 offset:896                            // 000000004D04: D86C0380 4E00000A
	ds_read_b32 v79, v10 offset:960                            // 000000004D0C: D86C03C0 4F00000A
	s_waitcnt lgkmcnt(0)                                       // 000000004D14: BF8CC07F
	v_max3_f32 v50, v64, v65, v50                              // 000000004D18: D1D30032 04CA8340
	v_max3_f32 v50, v66, v67, v50                              // 000000004D20: D1D30032 04CA8742
	v_max3_f32 v50, v68, v69, v50                              // 000000004D28: D1D30032 04CA8B44
	v_max3_f32 v50, v70, v71, v50                              // 000000004D30: D1D30032 04CA8F46
	v_max3_f32 v50, v72, v73, v50                              // 000000004D38: D1D30032 04CA9348
	v_max3_f32 v50, v74, v75, v50                              // 000000004D40: D1D30032 04CA974A
	v_max3_f32 v50, v76, v77, v50                              // 000000004D48: D1D30032 04CA9B4C
	v_max3_f32 v50, v78, v79, v50                              // 000000004D50: D1D30032 04CA9F4E
	s_nop 1                                                    // 000000004D58: BF800001
	v_mov_b32_dpp v39, v50 row_ror:8 row_mask:0xf bank_mask:0xf// 000000004D5C: 7E4E02FA FF012832
	v_max_f32_e32 v50, v50, v39                                // 000000004D64: 16644F32
	v_max_f32_e32 v16, v50, v14                                // 000000004D68: 16201D32
	v_sub_f32_e32 v51, v14, v16                                // 000000004D6C: 0466210E
	v_mov_b32_e32 v14, v16                                     // 000000004D70: 7E1C0310
	v_mul_f32_e32 v53, s64, v16                                // 000000004D74: 0A6A2040
	v_mul_f32_e32 v51, s64, v51                                // 000000004D78: 0A666640
	v_exp_f32_e32 v51, v51                                     // 000000004D7C: 7E664133
	v_fma_f32 v112, v112, s64, -v53                            // 000000004D80: D1CB0070 84D48170
	v_fma_f32 v113, v113, s64, -v53                            // 000000004D88: D1CB0071 84D48171
	v_exp_f32_e32 v112, v112                                   // 000000004D90: 7EE04170
	v_exp_f32_e32 v113, v113                                   // 000000004D94: 7EE24171
	v_mul_f32_e32 v43, v51, v43                                // 000000004D98: 0A565733
	v_mov_b32_e32 v45, v112                                    // 000000004D9C: 7E5A0370
	v_add_f32_e32 v45, v113, v45                               // 000000004DA0: 025A5B71
	v_add_f32_e32 v43, v45, v43                                // 000000004DA4: 0256572D
	v_cmp_u_f32_e64 s[40:41], v112, v112                       // 000000004DA8: D0480028 0002E170
	v_add3_u32 v19, v112, v22, 1                               // 000000004DB0: D1FF0013 02062D70
	v_cndmask_b32_e64 v39, v19, v21, s[40:41]                  // 000000004DB8: D1000027 00A22B13
	v_cmp_u_f32_e64 s[40:41], v113, v113                       // 000000004DC0: D0480028 0002E371
	v_add3_u32 v19, v113, v22, 1                               // 000000004DC8: D1FF0013 02062D71
	v_cndmask_b32_e64 v40, v19, v21, s[40:41]                  // 000000004DD0: D1000028 00A22B13
	v_perm_b32 v112, v40, v39, s52                             // 000000004DD8: D1ED0070 00D24F28
	ds_write_b64 v13, v[112:113] offset:4096                   // 000000004DE0: D89A1000 0000700D
	s_waitcnt lgkmcnt(0)                                       // 000000004DE8: BF8CC07F
	s_barrier                                                  // 000000004DEC: BF8A0000
	ds_read_b64 v[112:113], v12 offset:4096                    // 000000004DF0: D8EC1000 7000000C
	ds_read_b64 v[114:115], v12 offset:4224                    // 000000004DF8: D8EC1080 7200000C
	ds_read_b64 v[116:117], v12 offset:5120                    // 000000004E00: D8EC1400 7400000C
	ds_read_b64 v[118:119], v12 offset:5248                    // 000000004E08: D8EC1480 7600000C
	s_waitcnt lgkmcnt(0)                                       // 000000004E10: BF8CC07F
	v_mov_b32_dpp v113, v112 row_shl:8 row_mask:0xf bank_mask:0xf bound_ctrl:1// 000000004E14: 7EE202FA FF090870
	v_and_b32_e32 v112, v112, v9                               // 000000004E1C: 26E01370
	v_mov_b32_dpp v115, v114 row_shl:8 row_mask:0xf bank_mask:0xf bound_ctrl:1// 000000004E20: 7EE602FA FF090872
	v_and_b32_e32 v114, v114, v9                               // 000000004E28: 26E41372
	v_mov_b32_dpp v117, v116 row_shl:8 row_mask:0xf bank_mask:0xf bound_ctrl:1// 000000004E2C: 7EEA02FA FF090874
	v_and_b32_e32 v116, v116, v9                               // 000000004E34: 26E81374
	v_mov_b32_dpp v119, v118 row_shl:8 row_mask:0xf bank_mask:0xf bound_ctrl:1// 000000004E38: 7EEE02FA FF090876
	v_and_b32_e32 v118, v118, v9                               // 000000004E40: 26EC1376
	v_mul_f32_e32 v176, v51, v176                              // 000000004E44: 0B616133
	v_mul_f32_e32 v177, v51, v177                              // 000000004E48: 0B636333
	v_mul_f32_e32 v178, v51, v178                              // 000000004E4C: 0B656533
	v_mul_f32_e32 v179, v51, v179                              // 000000004E50: 0B676733
	v_mul_f32_e32 v180, v51, v180                              // 000000004E54: 0B696933
	v_mul_f32_e32 v181, v51, v181                              // 000000004E58: 0B6B6B33
	v_mul_f32_e32 v182, v51, v182                              // 000000004E5C: 0B6D6D33
	v_mul_f32_e32 v183, v51, v183                              // 000000004E60: 0B6F6F33
	s_waitcnt vmcnt(0)                                         // 000000004E64: BF8C0F70
	v_mfma_f32_16x16x16_bf16 v[176:179], a[192:193], v[112:113], v[176:179]// 000000004E68: D3E100B0 0EC2E1C0
	v_mfma_f32_16x16x16_bf16 v[176:179], a[194:195], v[114:115], v[176:179]// 000000004E70: D3E100B0 0EC2E5C2
	v_mfma_f32_16x16x16_bf16 v[176:179], a[196:197], v[116:117], v[176:179]// 000000004E78: D3E100B0 0EC2E9C4
	v_mfma_f32_16x16x16_bf16 v[176:179], a[198:199], v[118:119], v[176:179]// 000000004E80: D3E100B0 0EC2EDC6
	v_mfma_f32_16x16x16_bf16 v[180:183], a[224:225], v[112:113], v[180:183]// 000000004E88: D3E100B4 0ED2E1E0
	v_mfma_f32_16x16x16_bf16 v[180:183], a[226:227], v[114:115], v[180:183]// 000000004E90: D3E100B4 0ED2E5E2
	v_mfma_f32_16x16x16_bf16 v[180:183], a[228:229], v[116:117], v[180:183]// 000000004E98: D3E100B4 0ED2E9E4
	v_mfma_f32_16x16x16_bf16 v[180:183], a[230:231], v[118:119], v[180:183]// 000000004EA0: D3E100B4 0ED2EDE6
	s_nop 8                                                    // 000000004EA8: BF800008
	s_branch label_0F21                                        // 000000004EAC: BF8203F4

0000000000004eb0 <label_0B2D>:
	s_lshr_b32 s60, s71, 8                                     // 000000004EB0: 8F3C8847
	s_and_b32 s60, s60, 1                                      // 000000004EB4: 863C813C
	s_cmp_eq_i32 s60, 1                                        // 000000004EB8: BF00813C
	s_cbranch_scc1 label_0D29                                  // 000000004EBC: BF8501F8
	s_waitcnt vmcnt(16) lgkmcnt(0)                             // 000000004EC0: BF8C4070
	s_barrier                                                  // 000000004EC4: BF8A0000
	v_mfma_f32_16x16x16_bf16 v[112:115], a[0:1], v[80:81], 0   // 000000004EC8: D3E10070 0A02A100
	v_mfma_f32_16x16x16_bf16 v[112:115], a[2:3], v[82:83], v[112:115]// 000000004ED0: D3E10070 0DC2A502
	v_mfma_f32_16x16x16_bf16 v[112:115], a[4:5], v[84:85], v[112:115]// 000000004ED8: D3E10070 0DC2A904
	v_mfma_f32_16x16x16_bf16 v[112:115], a[6:7], v[86:87], v[112:115]// 000000004EE0: D3E10070 0DC2AD06
	v_mfma_f32_16x16x16_bf16 v[112:115], a[8:9], v[88:89], v[112:115]// 000000004EE8: D3E10070 0DC2B108
	v_mfma_f32_16x16x16_bf16 v[112:115], a[10:11], v[90:91], v[112:115]// 000000004EF0: D3E10070 0DC2B50A
	v_mfma_f32_16x16x16_bf16 v[112:115], a[12:13], v[92:93], v[112:115]// 000000004EF8: D3E10070 0DC2B90C
	v_mfma_f32_16x16x16_bf16 v[112:115], a[14:15], v[94:95], v[112:115]// 000000004F00: D3E10070 0DC2BD0E
	v_mfma_f32_16x16x16_bf16 v[116:119], a[16:17], v[80:81], 0 // 000000004F08: D3E10074 0A02A110
	v_mfma_f32_16x16x16_bf16 v[116:119], a[18:19], v[82:83], v[116:119]// 000000004F10: D3E10074 0DD2A512
	v_mfma_f32_16x16x16_bf16 v[116:119], a[20:21], v[84:85], v[116:119]// 000000004F18: D3E10074 0DD2A914
	v_mfma_f32_16x16x16_bf16 v[116:119], a[22:23], v[86:87], v[116:119]// 000000004F20: D3E10074 0DD2AD16
	v_mfma_f32_16x16x16_bf16 v[116:119], a[24:25], v[88:89], v[116:119]// 000000004F28: D3E10074 0DD2B118
	v_mfma_f32_16x16x16_bf16 v[116:119], a[26:27], v[90:91], v[116:119]// 000000004F30: D3E10074 0DD2B51A
	v_mfma_f32_16x16x16_bf16 v[116:119], a[28:29], v[92:93], v[116:119]// 000000004F38: D3E10074 0DD2B91C
	v_mfma_f32_16x16x16_bf16 v[116:119], a[30:31], v[94:95], v[116:119]// 000000004F40: D3E10074 0DD2BD1E
	v_mfma_f32_16x16x16_bf16 v[120:123], a[32:33], v[80:81], 0 // 000000004F48: D3E10078 0A02A120
	v_mfma_f32_16x16x16_bf16 v[120:123], a[34:35], v[82:83], v[120:123]// 000000004F50: D3E10078 0DE2A522
	v_mfma_f32_16x16x16_bf16 v[120:123], a[36:37], v[84:85], v[120:123]// 000000004F58: D3E10078 0DE2A924
	v_mfma_f32_16x16x16_bf16 v[120:123], a[38:39], v[86:87], v[120:123]// 000000004F60: D3E10078 0DE2AD26
	v_mfma_f32_16x16x16_bf16 v[120:123], a[40:41], v[88:89], v[120:123]// 000000004F68: D3E10078 0DE2B128
	v_mfma_f32_16x16x16_bf16 v[120:123], a[42:43], v[90:91], v[120:123]// 000000004F70: D3E10078 0DE2B52A
	v_mfma_f32_16x16x16_bf16 v[120:123], a[44:45], v[92:93], v[120:123]// 000000004F78: D3E10078 0DE2B92C
	v_mfma_f32_16x16x16_bf16 v[120:123], a[46:47], v[94:95], v[120:123]// 000000004F80: D3E10078 0DE2BD2E
	v_mfma_f32_16x16x16_bf16 v[124:127], a[48:49], v[80:81], 0 // 000000004F88: D3E1007C 0A02A130
	v_mfma_f32_16x16x16_bf16 v[124:127], a[50:51], v[82:83], v[124:127]// 000000004F90: D3E1007C 0DF2A532
	v_mfma_f32_16x16x16_bf16 v[124:127], a[52:53], v[84:85], v[124:127]// 000000004F98: D3E1007C 0DF2A934
	v_mfma_f32_16x16x16_bf16 v[124:127], a[54:55], v[86:87], v[124:127]// 000000004FA0: D3E1007C 0DF2AD36
	v_mfma_f32_16x16x16_bf16 v[124:127], a[56:57], v[88:89], v[124:127]// 000000004FA8: D3E1007C 0DF2B138
	v_mfma_f32_16x16x16_bf16 v[124:127], a[58:59], v[90:91], v[124:127]// 000000004FB0: D3E1007C 0DF2B53A
	v_mfma_f32_16x16x16_bf16 v[124:127], a[60:61], v[92:93], v[124:127]// 000000004FB8: D3E1007C 0DF2B93C
	v_mfma_f32_16x16x16_bf16 v[124:127], a[62:63], v[94:95], v[124:127]// 000000004FC0: D3E1007C 0DF2BD3E
	s_nop 8                                                    // 000000004FC8: BF800008
	s_and_b32 s60, s72, 0xff                                   // 000000004FCC: 863CFF48 000000FF
	v_mov_b32_e32 v56, s60                                     // 000000004FD4: 7E70023C
	v_lshrrev_b32_e32 v31, 4, v0                               // 000000004FD8: 203E0084
	v_mul_i32_i24_e32 v31, 4, v31                              // 000000004FDC: 0C3E3E84
	s_mul_i32 s60, s7, 16                                      // 000000004FE0: 923C9007
	v_add_u32_e32 v31, s60, v31                                // 000000004FE4: 683E3E3C
	v_add_u32_e32 v32, 1, v31                                  // 000000004FE8: 68403E81
	v_add_u32_e32 v33, 2, v31                                  // 000000004FEC: 68423E82
	v_add_u32_e32 v34, 3, v31                                  // 000000004FF0: 68443E83
	v_and_b32_e32 v39, v55, v9                                 // 000000004FF4: 264E1337
	v_cmp_lt_u32_e64 s[40:41], v31, v56                        // 000000004FF8: D0C90028 0002711F
	v_add_u32_e32 v31, 64, v31                                 // 000000005000: 683E3EC0
	s_nop 0                                                    // 000000005004: BF800000
	v_cndmask_b32_e64 v112, v39, v112, s[40:41]                // 000000005008: D1000070 00A2E127
	v_cmp_lt_u32_e64 s[40:41], v32, v56                        // 000000005010: D0C90028 00027120
	v_add_u32_e32 v32, 64, v32                                 // 000000005018: 684040C0
	s_nop 0                                                    // 00000000501C: BF800000
	v_cndmask_b32_e64 v113, v39, v113, s[40:41]                // 000000005020: D1000071 00A2E327
	v_cmp_lt_u32_e64 s[40:41], v33, v56                        // 000000005028: D0C90028 00027121
	v_add_u32_e32 v33, 64, v33                                 // 000000005030: 684242C0
	s_nop 0                                                    // 000000005034: BF800000
	v_cndmask_b32_e64 v114, v39, v114, s[40:41]                // 000000005038: D1000072 00A2E527
	v_cmp_lt_u32_e64 s[40:41], v34, v56                        // 000000005040: D0C90028 00027122
	v_add_u32_e32 v34, 64, v34                                 // 000000005048: 684444C0
	s_nop 0                                                    // 00000000504C: BF800000
	v_cndmask_b32_e64 v115, v39, v115, s[40:41]                // 000000005050: D1000073 00A2E727
	v_cmp_lt_u32_e64 s[40:41], v31, v56                        // 000000005058: D0C90028 0002711F
	v_add_u32_e32 v31, 64, v31                                 // 000000005060: 683E3EC0
	s_nop 0                                                    // 000000005064: BF800000
	v_cndmask_b32_e64 v116, v39, v116, s[40:41]                // 000000005068: D1000074 00A2E927
	v_cmp_lt_u32_e64 s[40:41], v32, v56                        // 000000005070: D0C90028 00027120
	v_add_u32_e32 v32, 64, v32                                 // 000000005078: 684040C0
	s_nop 0                                                    // 00000000507C: BF800000
	v_cndmask_b32_e64 v117, v39, v117, s[40:41]                // 000000005080: D1000075 00A2EB27
	v_cmp_lt_u32_e64 s[40:41], v33, v56                        // 000000005088: D0C90028 00027121
	v_add_u32_e32 v33, 64, v33                                 // 000000005090: 684242C0
	s_nop 0                                                    // 000000005094: BF800000
	v_cndmask_b32_e64 v118, v39, v118, s[40:41]                // 000000005098: D1000076 00A2ED27
	v_cmp_lt_u32_e64 s[40:41], v34, v56                        // 0000000050A0: D0C90028 00027122
	v_add_u32_e32 v34, 64, v34                                 // 0000000050A8: 684444C0
	s_nop 0                                                    // 0000000050AC: BF800000
	v_cndmask_b32_e64 v119, v39, v119, s[40:41]                // 0000000050B0: D1000077 00A2EF27
	v_cmp_lt_u32_e64 s[40:41], v31, v56                        // 0000000050B8: D0C90028 0002711F
	v_add_u32_e32 v31, 64, v31                                 // 0000000050C0: 683E3EC0
	s_nop 0                                                    // 0000000050C4: BF800000
	v_cndmask_b32_e64 v120, v39, v120, s[40:41]                // 0000000050C8: D1000078 00A2F127
	v_cmp_lt_u32_e64 s[40:41], v32, v56                        // 0000000050D0: D0C90028 00027120
	v_add_u32_e32 v32, 64, v32                                 // 0000000050D8: 684040C0
	s_nop 0                                                    // 0000000050DC: BF800000
	v_cndmask_b32_e64 v121, v39, v121, s[40:41]                // 0000000050E0: D1000079 00A2F327
	v_cmp_lt_u32_e64 s[40:41], v33, v56                        // 0000000050E8: D0C90028 00027121
	v_add_u32_e32 v33, 64, v33                                 // 0000000050F0: 684242C0
	s_nop 0                                                    // 0000000050F4: BF800000
	v_cndmask_b32_e64 v122, v39, v122, s[40:41]                // 0000000050F8: D100007A 00A2F527
	v_cmp_lt_u32_e64 s[40:41], v34, v56                        // 000000005100: D0C90028 00027122
	v_add_u32_e32 v34, 64, v34                                 // 000000005108: 684444C0
	s_nop 0                                                    // 00000000510C: BF800000
	v_cndmask_b32_e64 v123, v39, v123, s[40:41]                // 000000005110: D100007B 00A2F727
	v_cmp_lt_u32_e64 s[40:41], v31, v56                        // 000000005118: D0C90028 0002711F
	v_add_u32_e32 v31, 64, v31                                 // 000000005120: 683E3EC0
	s_nop 0                                                    // 000000005124: BF800000
	v_cndmask_b32_e64 v124, v39, v124, s[40:41]                // 000000005128: D100007C 00A2F927
	v_cmp_lt_u32_e64 s[40:41], v32, v56                        // 000000005130: D0C90028 00027120
	v_add_u32_e32 v32, 64, v32                                 // 000000005138: 684040C0
	s_nop 0                                                    // 00000000513C: BF800000
	v_cndmask_b32_e64 v125, v39, v125, s[40:41]                // 000000005140: D100007D 00A2FB27
	v_cmp_lt_u32_e64 s[40:41], v33, v56                        // 000000005148: D0C90028 00027121
	v_add_u32_e32 v33, 64, v33                                 // 000000005150: 684242C0
	s_nop 0                                                    // 000000005154: BF800000
	v_cndmask_b32_e64 v126, v39, v126, s[40:41]                // 000000005158: D100007E 00A2FD27
	v_cmp_lt_u32_e64 s[40:41], v34, v56                        // 000000005160: D0C90028 00027122
	v_add_u32_e32 v34, 64, v34                                 // 000000005168: 684444C0
	s_nop 0                                                    // 00000000516C: BF800000
	v_cndmask_b32_e64 v127, v39, v127, s[40:41]                // 000000005170: D100007F 00A2FF27
	s_nop 8                                                    // 000000005178: BF800008
	v_or_b32_dpp v112, v120, v112 row_shr:8 row_mask:0xf bank_mask:0xf bound_ctrl:1// 00000000517C: 28E0E0FA FF091878
	v_or_b32_dpp v113, v121, v113 row_shr:8 row_mask:0xf bank_mask:0xf bound_ctrl:1// 000000005184: 28E2E2FA FF091879
	v_or_b32_dpp v114, v122, v114 row_shr:8 row_mask:0xf bank_mask:0xf bound_ctrl:1// 00000000518C: 28E4E4FA FF09187A
	v_or_b32_dpp v115, v123, v115 row_shr:8 row_mask:0xf bank_mask:0xf bound_ctrl:1// 000000005194: 28E6E6FA FF09187B
	v_or_b32_dpp v116, v124, v116 row_shr:8 row_mask:0xf bank_mask:0xf bound_ctrl:1// 00000000519C: 28E8E8FA FF09187C
	v_or_b32_dpp v117, v125, v117 row_shr:8 row_mask:0xf bank_mask:0xf bound_ctrl:1// 0000000051A4: 28EAEAFA FF09187D
	v_or_b32_dpp v118, v126, v118 row_shr:8 row_mask:0xf bank_mask:0xf bound_ctrl:1// 0000000051AC: 28ECECFA FF09187E
	v_or_b32_dpp v119, v127, v119 row_shr:8 row_mask:0xf bank_mask:0xf bound_ctrl:1// 0000000051B4: 28EEEEFA FF09187F
	v_mov_b32_e32 v50, v112                                    // 0000000051BC: 7E640370
	v_max3_f32 v50, v112, v113, v50                            // 0000000051C0: D1D30032 04CAE370
	v_max3_f32 v50, v114, v115, v50                            // 0000000051C8: D1D30032 04CAE772
	v_max3_f32 v50, v116, v117, v50                            // 0000000051D0: D1D30032 04CAEB74
	v_max3_f32 v50, v118, v119, v50                            // 0000000051D8: D1D30032 04CAEF76
	ds_write_b32 v11, v50                                      // 0000000051E0: D81A0000 0000320B
	s_waitcnt lgkmcnt(0)                                       // 0000000051E8: BF8CC07F
	s_barrier                                                  // 0000000051EC: BF8A0000
	ds_read_b32 v64, v10                                       // 0000000051F0: D86C0000 4000000A
	ds_read_b32 v65, v10 offset:64                             // 0000000051F8: D86C0040 4100000A
	ds_read_b32 v66, v10 offset:128                            // 000000005200: D86C0080 4200000A
	ds_read_b32 v67, v10 offset:192                            // 000000005208: D86C00C0 4300000A
	ds_read_b32 v68, v10 offset:256                            // 000000005210: D86C0100 4400000A
	ds_read_b32 v69, v10 offset:320                            // 000000005218: D86C0140 4500000A
	ds_read_b32 v70, v10 offset:384                            // 000000005220: D86C0180 4600000A
	ds_read_b32 v71, v10 offset:448                            // 000000005228: D86C01C0 4700000A
	ds_read_b32 v72, v10 offset:512                            // 000000005230: D86C0200 4800000A
	ds_read_b32 v73, v10 offset:576                            // 000000005238: D86C0240 4900000A
	ds_read_b32 v74, v10 offset:640                            // 000000005240: D86C0280 4A00000A
	ds_read_b32 v75, v10 offset:704                            // 000000005248: D86C02C0 4B00000A
	ds_read_b32 v76, v10 offset:768                            // 000000005250: D86C0300 4C00000A
	ds_read_b32 v77, v10 offset:832                            // 000000005258: D86C0340 4D00000A
	ds_read_b32 v78, v10 offset:896                            // 000000005260: D86C0380 4E00000A
	ds_read_b32 v79, v10 offset:960                            // 000000005268: D86C03C0 4F00000A
	s_waitcnt lgkmcnt(0)                                       // 000000005270: BF8CC07F
	v_max3_f32 v50, v64, v65, v50                              // 000000005274: D1D30032 04CA8340
	v_max3_f32 v50, v66, v67, v50                              // 00000000527C: D1D30032 04CA8742
	v_max3_f32 v50, v68, v69, v50                              // 000000005284: D1D30032 04CA8B44
	v_max3_f32 v50, v70, v71, v50                              // 00000000528C: D1D30032 04CA8F46
	v_max3_f32 v50, v72, v73, v50                              // 000000005294: D1D30032 04CA9348
	v_max3_f32 v50, v74, v75, v50                              // 00000000529C: D1D30032 04CA974A
	v_max3_f32 v50, v76, v77, v50                              // 0000000052A4: D1D30032 04CA9B4C
	v_max3_f32 v50, v78, v79, v50                              // 0000000052AC: D1D30032 04CA9F4E
	v_cmp_eq_u32_e64 s[40:41], v55, v14                        // 0000000052B4: D0CA0028 00021D37
	s_nop 1                                                    // 0000000052BC: BF800001
	v_mov_b32_dpp v39, v50 row_ror:8 row_mask:0xf bank_mask:0xf// 0000000052C0: 7E4E02FA FF012832
	v_max_f32_e32 v50, v50, v39                                // 0000000052C8: 16644F32
	v_max_f32_e32 v16, v50, v14                                // 0000000052CC: 16201D32
	v_sub_f32_e32 v51, v14, v16                                // 0000000052D0: 0466210E
	v_cndmask_b32_e64 v51, v51, 0, s[40:41]                    // 0000000052D4: D1000033 00A10133
	v_mov_b32_e32 v14, v16                                     // 0000000052DC: 7E1C0310
	v_mul_f32_e32 v53, s64, v16                                // 0000000052E0: 0A6A2040
	v_mul_f32_e32 v51, s64, v51                                // 0000000052E4: 0A666640
	v_exp_f32_e32 v51, v51                                     // 0000000052E8: 7E664133
	v_fma_f32 v112, v112, s64, -v53                            // 0000000052EC: D1CB0070 84D48170
	v_fma_f32 v113, v113, s64, -v53                            // 0000000052F4: D1CB0071 84D48171
	v_fma_f32 v114, v114, s64, -v53                            // 0000000052FC: D1CB0072 84D48172
	v_fma_f32 v115, v115, s64, -v53                            // 000000005304: D1CB0073 84D48173
	v_fma_f32 v116, v116, s64, -v53                            // 00000000530C: D1CB0074 84D48174
	v_fma_f32 v117, v117, s64, -v53                            // 000000005314: D1CB0075 84D48175
	v_fma_f32 v118, v118, s64, -v53                            // 00000000531C: D1CB0076 84D48176
	v_fma_f32 v119, v119, s64, -v53                            // 000000005324: D1CB0077 84D48177
	v_exp_f32_e32 v112, v112                                   // 00000000532C: 7EE04170
	v_exp_f32_e32 v113, v113                                   // 000000005330: 7EE24171
	v_exp_f32_e32 v114, v114                                   // 000000005334: 7EE44172
	v_exp_f32_e32 v115, v115                                   // 000000005338: 7EE64173
	v_exp_f32_e32 v116, v116                                   // 00000000533C: 7EE84174
	v_exp_f32_e32 v117, v117                                   // 000000005340: 7EEA4175
	v_exp_f32_e32 v118, v118                                   // 000000005344: 7EEC4176
	v_exp_f32_e32 v119, v119                                   // 000000005348: 7EEE4177
	v_mul_f32_e32 v43, v51, v43                                // 00000000534C: 0A565733
	v_mov_b32_e32 v45, v112                                    // 000000005350: 7E5A0370
	v_add_f32_e32 v45, v113, v45                               // 000000005354: 025A5B71
	v_add_f32_e32 v45, v114, v45                               // 000000005358: 025A5B72
	v_add_f32_e32 v45, v115, v45                               // 00000000535C: 025A5B73
	v_add_f32_e32 v45, v116, v45                               // 000000005360: 025A5B74
	v_add_f32_e32 v45, v117, v45                               // 000000005364: 025A5B75
	v_add_f32_e32 v45, v118, v45                               // 000000005368: 025A5B76
	v_add_f32_e32 v45, v119, v45                               // 00000000536C: 025A5B77
	v_add_f32_e32 v43, v45, v43                                // 000000005370: 0256572D
	v_cmp_u_f32_e64 s[40:41], v112, v112                       // 000000005374: D0480028 0002E170
	v_add3_u32 v19, v112, v22, 1                               // 00000000537C: D1FF0013 02062D70
	v_cndmask_b32_e64 v39, v19, v21, s[40:41]                  // 000000005384: D1000027 00A22B13
	v_cmp_u_f32_e64 s[40:41], v113, v113                       // 00000000538C: D0480028 0002E371
	v_add3_u32 v19, v113, v22, 1                               // 000000005394: D1FF0013 02062D71
	v_cndmask_b32_e64 v40, v19, v21, s[40:41]                  // 00000000539C: D1000028 00A22B13
	v_perm_b32 v112, v40, v39, s52                             // 0000000053A4: D1ED0070 00D24F28
	v_cmp_u_f32_e64 s[40:41], v114, v114                       // 0000000053AC: D0480028 0002E572
	v_add3_u32 v19, v114, v22, 1                               // 0000000053B4: D1FF0013 02062D72
	v_cndmask_b32_e64 v39, v19, v21, s[40:41]                  // 0000000053BC: D1000027 00A22B13
	v_cmp_u_f32_e64 s[40:41], v115, v115                       // 0000000053C4: D0480028 0002E773
	v_add3_u32 v19, v115, v22, 1                               // 0000000053CC: D1FF0013 02062D73
	v_cndmask_b32_e64 v40, v19, v21, s[40:41]                  // 0000000053D4: D1000028 00A22B13
	v_perm_b32 v113, v40, v39, s52                             // 0000000053DC: D1ED0071 00D24F28
	v_cmp_u_f32_e64 s[40:41], v116, v116                       // 0000000053E4: D0480028 0002E974
	v_add3_u32 v19, v116, v22, 1                               // 0000000053EC: D1FF0013 02062D74
	v_cndmask_b32_e64 v39, v19, v21, s[40:41]                  // 0000000053F4: D1000027 00A22B13
	v_cmp_u_f32_e64 s[40:41], v117, v117                       // 0000000053FC: D0480028 0002EB75
	v_add3_u32 v19, v117, v22, 1                               // 000000005404: D1FF0013 02062D75
	v_cndmask_b32_e64 v40, v19, v21, s[40:41]                  // 00000000540C: D1000028 00A22B13
	v_perm_b32 v114, v40, v39, s52                             // 000000005414: D1ED0072 00D24F28
	v_cmp_u_f32_e64 s[40:41], v118, v118                       // 00000000541C: D0480028 0002ED76
	v_add3_u32 v19, v118, v22, 1                               // 000000005424: D1FF0013 02062D76
	v_cndmask_b32_e64 v39, v19, v21, s[40:41]                  // 00000000542C: D1000027 00A22B13
	v_cmp_u_f32_e64 s[40:41], v119, v119                       // 000000005434: D0480028 0002EF77
	v_add3_u32 v19, v119, v22, 1                               // 00000000543C: D1FF0013 02062D77
	v_cndmask_b32_e64 v40, v19, v21, s[40:41]                  // 000000005444: D1000028 00A22B13
	v_perm_b32 v115, v40, v39, s52                             // 00000000544C: D1ED0073 00D24F28
	ds_write_b64 v13, v[112:113] offset:4096                   // 000000005454: D89A1000 0000700D
	ds_write_b64 v13, v[114:115] offset:6144                   // 00000000545C: D89A1800 0000720D
	s_waitcnt lgkmcnt(0)                                       // 000000005464: BF8CC07F
	s_barrier                                                  // 000000005468: BF8A0000
	ds_read_b64 v[112:113], v12 offset:4096                    // 00000000546C: D8EC1000 7000000C
	ds_read_b64 v[114:115], v12 offset:4224                    // 000000005474: D8EC1080 7200000C
	ds_read_b64 v[116:117], v12 offset:5120                    // 00000000547C: D8EC1400 7400000C
	ds_read_b64 v[118:119], v12 offset:5248                    // 000000005484: D8EC1480 7600000C
	ds_read_b64 v[120:121], v12 offset:6144                    // 00000000548C: D8EC1800 7800000C
	ds_read_b64 v[122:123], v12 offset:6272                    // 000000005494: D8EC1880 7A00000C
	ds_read_b64 v[124:125], v12 offset:7168                    // 00000000549C: D8EC1C00 7C00000C
	ds_read_b64 v[126:127], v12 offset:7296                    // 0000000054A4: D8EC1C80 7E00000C
	s_waitcnt lgkmcnt(0)                                       // 0000000054AC: BF8CC07F
	v_mov_b32_dpp v128, v112 row_shl:8 row_mask:0xf bank_mask:0xf bound_ctrl:1// 0000000054B0: 7F0002FA FF090870
	v_and_b32_e32 v112, v112, v9                               // 0000000054B8: 26E01370
	v_mov_b32_dpp v129, v113 row_shl:8 row_mask:0xf bank_mask:0xf bound_ctrl:1// 0000000054BC: 7F0202FA FF090871
	v_and_b32_e32 v113, v113, v9                               // 0000000054C4: 26E21371
	v_mov_b32_dpp v130, v114 row_shl:8 row_mask:0xf bank_mask:0xf bound_ctrl:1// 0000000054C8: 7F0402FA FF090872
	v_and_b32_e32 v114, v114, v9                               // 0000000054D0: 26E41372
	v_mov_b32_dpp v131, v115 row_shl:8 row_mask:0xf bank_mask:0xf bound_ctrl:1// 0000000054D4: 7F0602FA FF090873
	v_and_b32_e32 v115, v115, v9                               // 0000000054DC: 26E61373
	v_mov_b32_dpp v132, v116 row_shl:8 row_mask:0xf bank_mask:0xf bound_ctrl:1// 0000000054E0: 7F0802FA FF090874
	v_and_b32_e32 v116, v116, v9                               // 0000000054E8: 26E81374
	v_mov_b32_dpp v133, v117 row_shl:8 row_mask:0xf bank_mask:0xf bound_ctrl:1// 0000000054EC: 7F0A02FA FF090875
	v_and_b32_e32 v117, v117, v9                               // 0000000054F4: 26EA1375
	v_mov_b32_dpp v134, v118 row_shl:8 row_mask:0xf bank_mask:0xf bound_ctrl:1// 0000000054F8: 7F0C02FA FF090876
	v_and_b32_e32 v118, v118, v9                               // 000000005500: 26EC1376
	v_mov_b32_dpp v135, v119 row_shl:8 row_mask:0xf bank_mask:0xf bound_ctrl:1// 000000005504: 7F0E02FA FF090877
	v_and_b32_e32 v119, v119, v9                               // 00000000550C: 26EE1377
	v_mov_b32_dpp v136, v120 row_shl:8 row_mask:0xf bank_mask:0xf bound_ctrl:1// 000000005510: 7F1002FA FF090878
	v_and_b32_e32 v120, v120, v9                               // 000000005518: 26F01378
	v_mov_b32_dpp v137, v121 row_shl:8 row_mask:0xf bank_mask:0xf bound_ctrl:1// 00000000551C: 7F1202FA FF090879
	v_and_b32_e32 v121, v121, v9                               // 000000005524: 26F21379
	v_mov_b32_dpp v138, v122 row_shl:8 row_mask:0xf bank_mask:0xf bound_ctrl:1// 000000005528: 7F1402FA FF09087A
	v_and_b32_e32 v122, v122, v9                               // 000000005530: 26F4137A
	v_mov_b32_dpp v139, v123 row_shl:8 row_mask:0xf bank_mask:0xf bound_ctrl:1// 000000005534: 7F1602FA FF09087B
	v_and_b32_e32 v123, v123, v9                               // 00000000553C: 26F6137B
	v_mov_b32_dpp v140, v124 row_shl:8 row_mask:0xf bank_mask:0xf bound_ctrl:1// 000000005540: 7F1802FA FF09087C
	v_and_b32_e32 v124, v124, v9                               // 000000005548: 26F8137C
	v_mov_b32_dpp v141, v125 row_shl:8 row_mask:0xf bank_mask:0xf bound_ctrl:1// 00000000554C: 7F1A02FA FF09087D
	v_and_b32_e32 v125, v125, v9                               // 000000005554: 26FA137D
	v_mov_b32_dpp v142, v126 row_shl:8 row_mask:0xf bank_mask:0xf bound_ctrl:1// 000000005558: 7F1C02FA FF09087E
	v_and_b32_e32 v126, v126, v9                               // 000000005560: 26FC137E
	v_mov_b32_dpp v143, v127 row_shl:8 row_mask:0xf bank_mask:0xf bound_ctrl:1// 000000005564: 7F1E02FA FF09087F
	v_and_b32_e32 v127, v127, v9                               // 00000000556C: 26FE137F
	v_mul_f32_e32 v176, v51, v176                              // 000000005570: 0B616133
	v_mul_f32_e32 v177, v51, v177                              // 000000005574: 0B636333
	v_mul_f32_e32 v178, v51, v178                              // 000000005578: 0B656533
	v_mul_f32_e32 v179, v51, v179                              // 00000000557C: 0B676733
	v_mul_f32_e32 v180, v51, v180                              // 000000005580: 0B696933
	v_mul_f32_e32 v181, v51, v181                              // 000000005584: 0B6B6B33
	v_mul_f32_e32 v182, v51, v182                              // 000000005588: 0B6D6D33
	v_mul_f32_e32 v183, v51, v183                              // 00000000558C: 0B6F6F33
	s_waitcnt vmcnt(0)                                         // 000000005590: BF8C0F70
	s_barrier                                                  // 000000005594: BF8A0000
	v_mfma_f32_16x16x16_bf16 v[176:179], a[128:129], v[112:113], v[176:179]// 000000005598: D3E100B0 0EC2E180
	v_mfma_f32_16x16x16_bf16 v[176:179], a[130:131], v[114:115], v[176:179]// 0000000055A0: D3E100B0 0EC2E582
	v_mfma_f32_16x16x16_bf16 v[176:179], a[132:133], v[116:117], v[176:179]// 0000000055A8: D3E100B0 0EC2E984
	v_mfma_f32_16x16x16_bf16 v[176:179], a[134:135], v[118:119], v[176:179]// 0000000055B0: D3E100B0 0EC2ED86
	v_mfma_f32_16x16x16_bf16 v[176:179], a[136:137], v[120:121], v[176:179]// 0000000055B8: D3E100B0 0EC2F188
	v_mfma_f32_16x16x16_bf16 v[176:179], a[138:139], v[122:123], v[176:179]// 0000000055C0: D3E100B0 0EC2F58A
	v_mfma_f32_16x16x16_bf16 v[176:179], a[140:141], v[124:125], v[176:179]// 0000000055C8: D3E100B0 0EC2F98C
	v_mfma_f32_16x16x16_bf16 v[176:179], a[142:143], v[126:127], v[176:179]// 0000000055D0: D3E100B0 0EC2FD8E
	v_mfma_f32_16x16x16_bf16 v[176:179], a[144:145], v[128:129], v[176:179]// 0000000055D8: D3E100B0 0EC30190
	v_mfma_f32_16x16x16_bf16 v[176:179], a[146:147], v[130:131], v[176:179]// 0000000055E0: D3E100B0 0EC30592
	v_mfma_f32_16x16x16_bf16 v[176:179], a[148:149], v[132:133], v[176:179]// 0000000055E8: D3E100B0 0EC30994
	v_mfma_f32_16x16x16_bf16 v[176:179], a[150:151], v[134:135], v[176:179]// 0000000055F0: D3E100B0 0EC30D96
	v_mfma_f32_16x16x16_bf16 v[176:179], a[152:153], v[136:137], v[176:179]// 0000000055F8: D3E100B0 0EC31198
	v_mfma_f32_16x16x16_bf16 v[176:179], a[154:155], v[138:139], v[176:179]// 000000005600: D3E100B0 0EC3159A
	v_mfma_f32_16x16x16_bf16 v[176:179], a[156:157], v[140:141], v[176:179]// 000000005608: D3E100B0 0EC3199C
	v_mfma_f32_16x16x16_bf16 v[176:179], a[158:159], v[142:143], v[176:179]// 000000005610: D3E100B0 0EC31D9E
	v_mfma_f32_16x16x16_bf16 v[180:183], a[160:161], v[112:113], v[180:183]// 000000005618: D3E100B4 0ED2E1A0
	v_mfma_f32_16x16x16_bf16 v[180:183], a[162:163], v[114:115], v[180:183]// 000000005620: D3E100B4 0ED2E5A2
	v_mfma_f32_16x16x16_bf16 v[180:183], a[164:165], v[116:117], v[180:183]// 000000005628: D3E100B4 0ED2E9A4
	v_mfma_f32_16x16x16_bf16 v[180:183], a[166:167], v[118:119], v[180:183]// 000000005630: D3E100B4 0ED2EDA6
	v_mfma_f32_16x16x16_bf16 v[180:183], a[168:169], v[120:121], v[180:183]// 000000005638: D3E100B4 0ED2F1A8
	v_mfma_f32_16x16x16_bf16 v[180:183], a[170:171], v[122:123], v[180:183]// 000000005640: D3E100B4 0ED2F5AA
	v_mfma_f32_16x16x16_bf16 v[180:183], a[172:173], v[124:125], v[180:183]// 000000005648: D3E100B4 0ED2F9AC
	v_mfma_f32_16x16x16_bf16 v[180:183], a[174:175], v[126:127], v[180:183]// 000000005650: D3E100B4 0ED2FDAE
	v_mfma_f32_16x16x16_bf16 v[180:183], a[176:177], v[128:129], v[180:183]// 000000005658: D3E100B4 0ED301B0
	v_mfma_f32_16x16x16_bf16 v[180:183], a[178:179], v[130:131], v[180:183]// 000000005660: D3E100B4 0ED305B2
	v_mfma_f32_16x16x16_bf16 v[180:183], a[180:181], v[132:133], v[180:183]// 000000005668: D3E100B4 0ED309B4
	v_mfma_f32_16x16x16_bf16 v[180:183], a[182:183], v[134:135], v[180:183]// 000000005670: D3E100B4 0ED30DB6
	v_mfma_f32_16x16x16_bf16 v[180:183], a[184:185], v[136:137], v[180:183]// 000000005678: D3E100B4 0ED311B8
	v_mfma_f32_16x16x16_bf16 v[180:183], a[186:187], v[138:139], v[180:183]// 000000005680: D3E100B4 0ED315BA
	v_mfma_f32_16x16x16_bf16 v[180:183], a[188:189], v[140:141], v[180:183]// 000000005688: D3E100B4 0ED319BC
	v_mfma_f32_16x16x16_bf16 v[180:183], a[190:191], v[142:143], v[180:183]// 000000005690: D3E100B4 0ED31DBE
	s_nop 8                                                    // 000000005698: BF800008
	s_branch label_0F21                                        // 00000000569C: BF8201F8

00000000000056a0 <label_0D29>:
	s_waitcnt vmcnt(16) lgkmcnt(0)                             // 0000000056A0: BF8C4070
	s_barrier                                                  // 0000000056A4: BF8A0000
	v_mfma_f32_16x16x16_bf16 v[112:115], a[64:65], v[80:81], 0 // 0000000056A8: D3E10070 0A02A140
	v_mfma_f32_16x16x16_bf16 v[112:115], a[66:67], v[82:83], v[112:115]// 0000000056B0: D3E10070 0DC2A542
	v_mfma_f32_16x16x16_bf16 v[112:115], a[68:69], v[84:85], v[112:115]// 0000000056B8: D3E10070 0DC2A944
	v_mfma_f32_16x16x16_bf16 v[112:115], a[70:71], v[86:87], v[112:115]// 0000000056C0: D3E10070 0DC2AD46
	v_mfma_f32_16x16x16_bf16 v[112:115], a[72:73], v[88:89], v[112:115]// 0000000056C8: D3E10070 0DC2B148
	v_mfma_f32_16x16x16_bf16 v[112:115], a[74:75], v[90:91], v[112:115]// 0000000056D0: D3E10070 0DC2B54A
	v_mfma_f32_16x16x16_bf16 v[112:115], a[76:77], v[92:93], v[112:115]// 0000000056D8: D3E10070 0DC2B94C
	v_mfma_f32_16x16x16_bf16 v[112:115], a[78:79], v[94:95], v[112:115]// 0000000056E0: D3E10070 0DC2BD4E
	v_mfma_f32_16x16x16_bf16 v[116:119], a[80:81], v[80:81], 0 // 0000000056E8: D3E10074 0A02A150
	v_mfma_f32_16x16x16_bf16 v[116:119], a[82:83], v[82:83], v[116:119]// 0000000056F0: D3E10074 0DD2A552
	v_mfma_f32_16x16x16_bf16 v[116:119], a[84:85], v[84:85], v[116:119]// 0000000056F8: D3E10074 0DD2A954
	v_mfma_f32_16x16x16_bf16 v[116:119], a[86:87], v[86:87], v[116:119]// 000000005700: D3E10074 0DD2AD56
	v_mfma_f32_16x16x16_bf16 v[116:119], a[88:89], v[88:89], v[116:119]// 000000005708: D3E10074 0DD2B158
	v_mfma_f32_16x16x16_bf16 v[116:119], a[90:91], v[90:91], v[116:119]// 000000005710: D3E10074 0DD2B55A
	v_mfma_f32_16x16x16_bf16 v[116:119], a[92:93], v[92:93], v[116:119]// 000000005718: D3E10074 0DD2B95C
	v_mfma_f32_16x16x16_bf16 v[116:119], a[94:95], v[94:95], v[116:119]// 000000005720: D3E10074 0DD2BD5E
	v_mfma_f32_16x16x16_bf16 v[120:123], a[96:97], v[80:81], 0 // 000000005728: D3E10078 0A02A160
	v_mfma_f32_16x16x16_bf16 v[120:123], a[98:99], v[82:83], v[120:123]// 000000005730: D3E10078 0DE2A562
	v_mfma_f32_16x16x16_bf16 v[120:123], a[100:101], v[84:85], v[120:123]// 000000005738: D3E10078 0DE2A964
	v_mfma_f32_16x16x16_bf16 v[120:123], a[102:103], v[86:87], v[120:123]// 000000005740: D3E10078 0DE2AD66
	v_mfma_f32_16x16x16_bf16 v[120:123], a[104:105], v[88:89], v[120:123]// 000000005748: D3E10078 0DE2B168
	v_mfma_f32_16x16x16_bf16 v[120:123], a[106:107], v[90:91], v[120:123]// 000000005750: D3E10078 0DE2B56A
	v_mfma_f32_16x16x16_bf16 v[120:123], a[108:109], v[92:93], v[120:123]// 000000005758: D3E10078 0DE2B96C
	v_mfma_f32_16x16x16_bf16 v[120:123], a[110:111], v[94:95], v[120:123]// 000000005760: D3E10078 0DE2BD6E
	v_mfma_f32_16x16x16_bf16 v[124:127], a[112:113], v[80:81], 0// 000000005768: D3E1007C 0A02A170
	v_mfma_f32_16x16x16_bf16 v[124:127], a[114:115], v[82:83], v[124:127]// 000000005770: D3E1007C 0DF2A572
	v_mfma_f32_16x16x16_bf16 v[124:127], a[116:117], v[84:85], v[124:127]// 000000005778: D3E1007C 0DF2A974
	v_mfma_f32_16x16x16_bf16 v[124:127], a[118:119], v[86:87], v[124:127]// 000000005780: D3E1007C 0DF2AD76
	v_mfma_f32_16x16x16_bf16 v[124:127], a[120:121], v[88:89], v[124:127]// 000000005788: D3E1007C 0DF2B178
	v_mfma_f32_16x16x16_bf16 v[124:127], a[122:123], v[90:91], v[124:127]// 000000005790: D3E1007C 0DF2B57A
	v_mfma_f32_16x16x16_bf16 v[124:127], a[124:125], v[92:93], v[124:127]// 000000005798: D3E1007C 0DF2B97C
	v_mfma_f32_16x16x16_bf16 v[124:127], a[126:127], v[94:95], v[124:127]// 0000000057A0: D3E1007C 0DF2BD7E
	s_nop 8                                                    // 0000000057A8: BF800008
	s_and_b32 s60, s72, 0xff                                   // 0000000057AC: 863CFF48 000000FF
	v_mov_b32_e32 v56, s60                                     // 0000000057B4: 7E70023C
	v_lshrrev_b32_e32 v31, 4, v0                               // 0000000057B8: 203E0084
	v_mul_i32_i24_e32 v31, 4, v31                              // 0000000057BC: 0C3E3E84
	s_mul_i32 s60, s7, 16                                      // 0000000057C0: 923C9007
	v_add_u32_e32 v31, s60, v31                                // 0000000057C4: 683E3E3C
	v_add_u32_e32 v32, 1, v31                                  // 0000000057C8: 68403E81
	v_add_u32_e32 v33, 2, v31                                  // 0000000057CC: 68423E82
	v_add_u32_e32 v34, 3, v31                                  // 0000000057D0: 68443E83
	v_and_b32_e32 v39, v55, v9                                 // 0000000057D4: 264E1337
	v_cmp_lt_u32_e64 s[40:41], v31, v56                        // 0000000057D8: D0C90028 0002711F
	v_add_u32_e32 v31, 64, v31                                 // 0000000057E0: 683E3EC0
	s_nop 0                                                    // 0000000057E4: BF800000
	v_cndmask_b32_e64 v112, v39, v112, s[40:41]                // 0000000057E8: D1000070 00A2E127
	v_cmp_lt_u32_e64 s[40:41], v32, v56                        // 0000000057F0: D0C90028 00027120
	v_add_u32_e32 v32, 64, v32                                 // 0000000057F8: 684040C0
	s_nop 0                                                    // 0000000057FC: BF800000
	v_cndmask_b32_e64 v113, v39, v113, s[40:41]                // 000000005800: D1000071 00A2E327
	v_cmp_lt_u32_e64 s[40:41], v33, v56                        // 000000005808: D0C90028 00027121
	v_add_u32_e32 v33, 64, v33                                 // 000000005810: 684242C0
	s_nop 0                                                    // 000000005814: BF800000
	v_cndmask_b32_e64 v114, v39, v114, s[40:41]                // 000000005818: D1000072 00A2E527
	v_cmp_lt_u32_e64 s[40:41], v34, v56                        // 000000005820: D0C90028 00027122
	v_add_u32_e32 v34, 64, v34                                 // 000000005828: 684444C0
	s_nop 0                                                    // 00000000582C: BF800000
	v_cndmask_b32_e64 v115, v39, v115, s[40:41]                // 000000005830: D1000073 00A2E727
	v_cmp_lt_u32_e64 s[40:41], v31, v56                        // 000000005838: D0C90028 0002711F
	v_add_u32_e32 v31, 64, v31                                 // 000000005840: 683E3EC0
	s_nop 0                                                    // 000000005844: BF800000
	v_cndmask_b32_e64 v116, v39, v116, s[40:41]                // 000000005848: D1000074 00A2E927
	v_cmp_lt_u32_e64 s[40:41], v32, v56                        // 000000005850: D0C90028 00027120
	v_add_u32_e32 v32, 64, v32                                 // 000000005858: 684040C0
	s_nop 0                                                    // 00000000585C: BF800000
	v_cndmask_b32_e64 v117, v39, v117, s[40:41]                // 000000005860: D1000075 00A2EB27
	v_cmp_lt_u32_e64 s[40:41], v33, v56                        // 000000005868: D0C90028 00027121
	v_add_u32_e32 v33, 64, v33                                 // 000000005870: 684242C0
	s_nop 0                                                    // 000000005874: BF800000
	v_cndmask_b32_e64 v118, v39, v118, s[40:41]                // 000000005878: D1000076 00A2ED27
	v_cmp_lt_u32_e64 s[40:41], v34, v56                        // 000000005880: D0C90028 00027122
	v_add_u32_e32 v34, 64, v34                                 // 000000005888: 684444C0
	s_nop 0                                                    // 00000000588C: BF800000
	v_cndmask_b32_e64 v119, v39, v119, s[40:41]                // 000000005890: D1000077 00A2EF27
	v_cmp_lt_u32_e64 s[40:41], v31, v56                        // 000000005898: D0C90028 0002711F
	v_add_u32_e32 v31, 64, v31                                 // 0000000058A0: 683E3EC0
	s_nop 0                                                    // 0000000058A4: BF800000
	v_cndmask_b32_e64 v120, v39, v120, s[40:41]                // 0000000058A8: D1000078 00A2F127
	v_cmp_lt_u32_e64 s[40:41], v32, v56                        // 0000000058B0: D0C90028 00027120
	v_add_u32_e32 v32, 64, v32                                 // 0000000058B8: 684040C0
	s_nop 0                                                    // 0000000058BC: BF800000
	v_cndmask_b32_e64 v121, v39, v121, s[40:41]                // 0000000058C0: D1000079 00A2F327
	v_cmp_lt_u32_e64 s[40:41], v33, v56                        // 0000000058C8: D0C90028 00027121
	v_add_u32_e32 v33, 64, v33                                 // 0000000058D0: 684242C0
	s_nop 0                                                    // 0000000058D4: BF800000
	v_cndmask_b32_e64 v122, v39, v122, s[40:41]                // 0000000058D8: D100007A 00A2F527
	v_cmp_lt_u32_e64 s[40:41], v34, v56                        // 0000000058E0: D0C90028 00027122
	v_add_u32_e32 v34, 64, v34                                 // 0000000058E8: 684444C0
	s_nop 0                                                    // 0000000058EC: BF800000
	v_cndmask_b32_e64 v123, v39, v123, s[40:41]                // 0000000058F0: D100007B 00A2F727
	v_cmp_lt_u32_e64 s[40:41], v31, v56                        // 0000000058F8: D0C90028 0002711F
	v_add_u32_e32 v31, 64, v31                                 // 000000005900: 683E3EC0
	s_nop 0                                                    // 000000005904: BF800000
	v_cndmask_b32_e64 v124, v39, v124, s[40:41]                // 000000005908: D100007C 00A2F927
	v_cmp_lt_u32_e64 s[40:41], v32, v56                        // 000000005910: D0C90028 00027120
	v_add_u32_e32 v32, 64, v32                                 // 000000005918: 684040C0
	s_nop 0                                                    // 00000000591C: BF800000
	v_cndmask_b32_e64 v125, v39, v125, s[40:41]                // 000000005920: D100007D 00A2FB27
	v_cmp_lt_u32_e64 s[40:41], v33, v56                        // 000000005928: D0C90028 00027121
	v_add_u32_e32 v33, 64, v33                                 // 000000005930: 684242C0
	s_nop 0                                                    // 000000005934: BF800000
	v_cndmask_b32_e64 v126, v39, v126, s[40:41]                // 000000005938: D100007E 00A2FD27
	v_cmp_lt_u32_e64 s[40:41], v34, v56                        // 000000005940: D0C90028 00027122
	v_add_u32_e32 v34, 64, v34                                 // 000000005948: 684444C0
	s_nop 0                                                    // 00000000594C: BF800000
	v_cndmask_b32_e64 v127, v39, v127, s[40:41]                // 000000005950: D100007F 00A2FF27
	s_nop 8                                                    // 000000005958: BF800008
	v_or_b32_dpp v112, v120, v112 row_shr:8 row_mask:0xf bank_mask:0xf bound_ctrl:1// 00000000595C: 28E0E0FA FF091878
	v_or_b32_dpp v113, v121, v113 row_shr:8 row_mask:0xf bank_mask:0xf bound_ctrl:1// 000000005964: 28E2E2FA FF091879
	v_or_b32_dpp v114, v122, v114 row_shr:8 row_mask:0xf bank_mask:0xf bound_ctrl:1// 00000000596C: 28E4E4FA FF09187A
	v_or_b32_dpp v115, v123, v115 row_shr:8 row_mask:0xf bank_mask:0xf bound_ctrl:1// 000000005974: 28E6E6FA FF09187B
	v_or_b32_dpp v116, v124, v116 row_shr:8 row_mask:0xf bank_mask:0xf bound_ctrl:1// 00000000597C: 28E8E8FA FF09187C
	v_or_b32_dpp v117, v125, v117 row_shr:8 row_mask:0xf bank_mask:0xf bound_ctrl:1// 000000005984: 28EAEAFA FF09187D
	v_or_b32_dpp v118, v126, v118 row_shr:8 row_mask:0xf bank_mask:0xf bound_ctrl:1// 00000000598C: 28ECECFA FF09187E
	v_or_b32_dpp v119, v127, v119 row_shr:8 row_mask:0xf bank_mask:0xf bound_ctrl:1// 000000005994: 28EEEEFA FF09187F
	v_mov_b32_e32 v50, v112                                    // 00000000599C: 7E640370
	v_max3_f32 v50, v112, v113, v50                            // 0000000059A0: D1D30032 04CAE370
	v_max3_f32 v50, v114, v115, v50                            // 0000000059A8: D1D30032 04CAE772
	v_max3_f32 v50, v116, v117, v50                            // 0000000059B0: D1D30032 04CAEB74
	v_max3_f32 v50, v118, v119, v50                            // 0000000059B8: D1D30032 04CAEF76
	ds_write_b32 v11, v50                                      // 0000000059C0: D81A0000 0000320B
	s_waitcnt lgkmcnt(0)                                       // 0000000059C8: BF8CC07F
	s_barrier                                                  // 0000000059CC: BF8A0000
	ds_read_b32 v64, v10                                       // 0000000059D0: D86C0000 4000000A
	ds_read_b32 v65, v10 offset:64                             // 0000000059D8: D86C0040 4100000A
	ds_read_b32 v66, v10 offset:128                            // 0000000059E0: D86C0080 4200000A
	ds_read_b32 v67, v10 offset:192                            // 0000000059E8: D86C00C0 4300000A
	ds_read_b32 v68, v10 offset:256                            // 0000000059F0: D86C0100 4400000A
	ds_read_b32 v69, v10 offset:320                            // 0000000059F8: D86C0140 4500000A
	ds_read_b32 v70, v10 offset:384                            // 000000005A00: D86C0180 4600000A
	ds_read_b32 v71, v10 offset:448                            // 000000005A08: D86C01C0 4700000A
	ds_read_b32 v72, v10 offset:512                            // 000000005A10: D86C0200 4800000A
	ds_read_b32 v73, v10 offset:576                            // 000000005A18: D86C0240 4900000A
	ds_read_b32 v74, v10 offset:640                            // 000000005A20: D86C0280 4A00000A
	ds_read_b32 v75, v10 offset:704                            // 000000005A28: D86C02C0 4B00000A
	ds_read_b32 v76, v10 offset:768                            // 000000005A30: D86C0300 4C00000A
	ds_read_b32 v77, v10 offset:832                            // 000000005A38: D86C0340 4D00000A
	ds_read_b32 v78, v10 offset:896                            // 000000005A40: D86C0380 4E00000A
	ds_read_b32 v79, v10 offset:960                            // 000000005A48: D86C03C0 4F00000A
	s_waitcnt lgkmcnt(0)                                       // 000000005A50: BF8CC07F
	v_max3_f32 v50, v64, v65, v50                              // 000000005A54: D1D30032 04CA8340
	v_max3_f32 v50, v66, v67, v50                              // 000000005A5C: D1D30032 04CA8742
	v_max3_f32 v50, v68, v69, v50                              // 000000005A64: D1D30032 04CA8B44
	v_max3_f32 v50, v70, v71, v50                              // 000000005A6C: D1D30032 04CA8F46
	v_max3_f32 v50, v72, v73, v50                              // 000000005A74: D1D30032 04CA9348
	v_max3_f32 v50, v74, v75, v50                              // 000000005A7C: D1D30032 04CA974A
	v_max3_f32 v50, v76, v77, v50                              // 000000005A84: D1D30032 04CA9B4C
	v_max3_f32 v50, v78, v79, v50                              // 000000005A8C: D1D30032 04CA9F4E
	v_cmp_eq_u32_e64 s[40:41], v55, v14                        // 000000005A94: D0CA0028 00021D37
	s_nop 1                                                    // 000000005A9C: BF800001
	v_mov_b32_dpp v39, v50 row_ror:8 row_mask:0xf bank_mask:0xf// 000000005AA0: 7E4E02FA FF012832
	v_max_f32_e32 v50, v50, v39                                // 000000005AA8: 16644F32
	v_max_f32_e32 v16, v50, v14                                // 000000005AAC: 16201D32
	v_sub_f32_e32 v51, v14, v16                                // 000000005AB0: 0466210E
	v_cndmask_b32_e64 v51, v51, 0, s[40:41]                    // 000000005AB4: D1000033 00A10133
	v_mov_b32_e32 v14, v16                                     // 000000005ABC: 7E1C0310
	v_mul_f32_e32 v53, s64, v16                                // 000000005AC0: 0A6A2040
	v_mul_f32_e32 v51, s64, v51                                // 000000005AC4: 0A666640
	v_exp_f32_e32 v51, v51                                     // 000000005AC8: 7E664133
	v_fma_f32 v112, v112, s64, -v53                            // 000000005ACC: D1CB0070 84D48170
	v_fma_f32 v113, v113, s64, -v53                            // 000000005AD4: D1CB0071 84D48171
	v_fma_f32 v114, v114, s64, -v53                            // 000000005ADC: D1CB0072 84D48172
	v_fma_f32 v115, v115, s64, -v53                            // 000000005AE4: D1CB0073 84D48173
	v_fma_f32 v116, v116, s64, -v53                            // 000000005AEC: D1CB0074 84D48174
	v_fma_f32 v117, v117, s64, -v53                            // 000000005AF4: D1CB0075 84D48175
	v_fma_f32 v118, v118, s64, -v53                            // 000000005AFC: D1CB0076 84D48176
	v_fma_f32 v119, v119, s64, -v53                            // 000000005B04: D1CB0077 84D48177
	v_exp_f32_e32 v112, v112                                   // 000000005B0C: 7EE04170
	v_exp_f32_e32 v113, v113                                   // 000000005B10: 7EE24171
	v_exp_f32_e32 v114, v114                                   // 000000005B14: 7EE44172
	v_exp_f32_e32 v115, v115                                   // 000000005B18: 7EE64173
	v_exp_f32_e32 v116, v116                                   // 000000005B1C: 7EE84174
	v_exp_f32_e32 v117, v117                                   // 000000005B20: 7EEA4175
	v_exp_f32_e32 v118, v118                                   // 000000005B24: 7EEC4176
	v_exp_f32_e32 v119, v119                                   // 000000005B28: 7EEE4177
	v_mul_f32_e32 v43, v51, v43                                // 000000005B2C: 0A565733
	v_mov_b32_e32 v45, v112                                    // 000000005B30: 7E5A0370
	v_add_f32_e32 v45, v113, v45                               // 000000005B34: 025A5B71
	v_add_f32_e32 v45, v114, v45                               // 000000005B38: 025A5B72
	v_add_f32_e32 v45, v115, v45                               // 000000005B3C: 025A5B73
	v_add_f32_e32 v45, v116, v45                               // 000000005B40: 025A5B74
	v_add_f32_e32 v45, v117, v45                               // 000000005B44: 025A5B75
	v_add_f32_e32 v45, v118, v45                               // 000000005B48: 025A5B76
	v_add_f32_e32 v45, v119, v45                               // 000000005B4C: 025A5B77
	v_add_f32_e32 v43, v45, v43                                // 000000005B50: 0256572D
	v_cmp_u_f32_e64 s[40:41], v112, v112                       // 000000005B54: D0480028 0002E170
	v_add3_u32 v19, v112, v22, 1                               // 000000005B5C: D1FF0013 02062D70
	v_cndmask_b32_e64 v39, v19, v21, s[40:41]                  // 000000005B64: D1000027 00A22B13
	v_cmp_u_f32_e64 s[40:41], v113, v113                       // 000000005B6C: D0480028 0002E371
	v_add3_u32 v19, v113, v22, 1                               // 000000005B74: D1FF0013 02062D71
	v_cndmask_b32_e64 v40, v19, v21, s[40:41]                  // 000000005B7C: D1000028 00A22B13
	v_perm_b32 v112, v40, v39, s52                             // 000000005B84: D1ED0070 00D24F28
	v_cmp_u_f32_e64 s[40:41], v114, v114                       // 000000005B8C: D0480028 0002E572
	v_add3_u32 v19, v114, v22, 1                               // 000000005B94: D1FF0013 02062D72
	v_cndmask_b32_e64 v39, v19, v21, s[40:41]                  // 000000005B9C: D1000027 00A22B13
	v_cmp_u_f32_e64 s[40:41], v115, v115                       // 000000005BA4: D0480028 0002E773
	v_add3_u32 v19, v115, v22, 1                               // 000000005BAC: D1FF0013 02062D73
	v_cndmask_b32_e64 v40, v19, v21, s[40:41]                  // 000000005BB4: D1000028 00A22B13
	v_perm_b32 v113, v40, v39, s52                             // 000000005BBC: D1ED0071 00D24F28
	v_cmp_u_f32_e64 s[40:41], v116, v116                       // 000000005BC4: D0480028 0002E974
	v_add3_u32 v19, v116, v22, 1                               // 000000005BCC: D1FF0013 02062D74
	v_cndmask_b32_e64 v39, v19, v21, s[40:41]                  // 000000005BD4: D1000027 00A22B13
	v_cmp_u_f32_e64 s[40:41], v117, v117                       // 000000005BDC: D0480028 0002EB75
	v_add3_u32 v19, v117, v22, 1                               // 000000005BE4: D1FF0013 02062D75
	v_cndmask_b32_e64 v40, v19, v21, s[40:41]                  // 000000005BEC: D1000028 00A22B13
	v_perm_b32 v114, v40, v39, s52                             // 000000005BF4: D1ED0072 00D24F28
	v_cmp_u_f32_e64 s[40:41], v118, v118                       // 000000005BFC: D0480028 0002ED76
	v_add3_u32 v19, v118, v22, 1                               // 000000005C04: D1FF0013 02062D76
	v_cndmask_b32_e64 v39, v19, v21, s[40:41]                  // 000000005C0C: D1000027 00A22B13
	v_cmp_u_f32_e64 s[40:41], v119, v119                       // 000000005C14: D0480028 0002EF77
	v_add3_u32 v19, v119, v22, 1                               // 000000005C1C: D1FF0013 02062D77
	v_cndmask_b32_e64 v40, v19, v21, s[40:41]                  // 000000005C24: D1000028 00A22B13
	v_perm_b32 v115, v40, v39, s52                             // 000000005C2C: D1ED0073 00D24F28
	ds_write_b64 v13, v[112:113] offset:4096                   // 000000005C34: D89A1000 0000700D
	ds_write_b64 v13, v[114:115] offset:6144                   // 000000005C3C: D89A1800 0000720D
	s_waitcnt lgkmcnt(0)                                       // 000000005C44: BF8CC07F
	s_barrier                                                  // 000000005C48: BF8A0000
	ds_read_b64 v[112:113], v12 offset:4096                    // 000000005C4C: D8EC1000 7000000C
	ds_read_b64 v[114:115], v12 offset:4224                    // 000000005C54: D8EC1080 7200000C
	ds_read_b64 v[116:117], v12 offset:5120                    // 000000005C5C: D8EC1400 7400000C
	ds_read_b64 v[118:119], v12 offset:5248                    // 000000005C64: D8EC1480 7600000C
	ds_read_b64 v[120:121], v12 offset:6144                    // 000000005C6C: D8EC1800 7800000C
	ds_read_b64 v[122:123], v12 offset:6272                    // 000000005C74: D8EC1880 7A00000C
	ds_read_b64 v[124:125], v12 offset:7168                    // 000000005C7C: D8EC1C00 7C00000C
	ds_read_b64 v[126:127], v12 offset:7296                    // 000000005C84: D8EC1C80 7E00000C
	s_waitcnt lgkmcnt(0)                                       // 000000005C8C: BF8CC07F
	v_mov_b32_dpp v128, v112 row_shl:8 row_mask:0xf bank_mask:0xf bound_ctrl:1// 000000005C90: 7F0002FA FF090870
	v_and_b32_e32 v112, v112, v9                               // 000000005C98: 26E01370
	v_mov_b32_dpp v129, v113 row_shl:8 row_mask:0xf bank_mask:0xf bound_ctrl:1// 000000005C9C: 7F0202FA FF090871
	v_and_b32_e32 v113, v113, v9                               // 000000005CA4: 26E21371
	v_mov_b32_dpp v130, v114 row_shl:8 row_mask:0xf bank_mask:0xf bound_ctrl:1// 000000005CA8: 7F0402FA FF090872
	v_and_b32_e32 v114, v114, v9                               // 000000005CB0: 26E41372
	v_mov_b32_dpp v131, v115 row_shl:8 row_mask:0xf bank_mask:0xf bound_ctrl:1// 000000005CB4: 7F0602FA FF090873
	v_and_b32_e32 v115, v115, v9                               // 000000005CBC: 26E61373
	v_mov_b32_dpp v132, v116 row_shl:8 row_mask:0xf bank_mask:0xf bound_ctrl:1// 000000005CC0: 7F0802FA FF090874
	v_and_b32_e32 v116, v116, v9                               // 000000005CC8: 26E81374
	v_mov_b32_dpp v133, v117 row_shl:8 row_mask:0xf bank_mask:0xf bound_ctrl:1// 000000005CCC: 7F0A02FA FF090875
	v_and_b32_e32 v117, v117, v9                               // 000000005CD4: 26EA1375
	v_mov_b32_dpp v134, v118 row_shl:8 row_mask:0xf bank_mask:0xf bound_ctrl:1// 000000005CD8: 7F0C02FA FF090876
	v_and_b32_e32 v118, v118, v9                               // 000000005CE0: 26EC1376
	v_mov_b32_dpp v135, v119 row_shl:8 row_mask:0xf bank_mask:0xf bound_ctrl:1// 000000005CE4: 7F0E02FA FF090877
	v_and_b32_e32 v119, v119, v9                               // 000000005CEC: 26EE1377
	v_mov_b32_dpp v136, v120 row_shl:8 row_mask:0xf bank_mask:0xf bound_ctrl:1// 000000005CF0: 7F1002FA FF090878
	v_and_b32_e32 v120, v120, v9                               // 000000005CF8: 26F01378
	v_mov_b32_dpp v137, v121 row_shl:8 row_mask:0xf bank_mask:0xf bound_ctrl:1// 000000005CFC: 7F1202FA FF090879
	v_and_b32_e32 v121, v121, v9                               // 000000005D04: 26F21379
	v_mov_b32_dpp v138, v122 row_shl:8 row_mask:0xf bank_mask:0xf bound_ctrl:1// 000000005D08: 7F1402FA FF09087A
	v_and_b32_e32 v122, v122, v9                               // 000000005D10: 26F4137A
	v_mov_b32_dpp v139, v123 row_shl:8 row_mask:0xf bank_mask:0xf bound_ctrl:1// 000000005D14: 7F1602FA FF09087B
	v_and_b32_e32 v123, v123, v9                               // 000000005D1C: 26F6137B
	v_mov_b32_dpp v140, v124 row_shl:8 row_mask:0xf bank_mask:0xf bound_ctrl:1// 000000005D20: 7F1802FA FF09087C
	v_and_b32_e32 v124, v124, v9                               // 000000005D28: 26F8137C
	v_mov_b32_dpp v141, v125 row_shl:8 row_mask:0xf bank_mask:0xf bound_ctrl:1// 000000005D2C: 7F1A02FA FF09087D
	v_and_b32_e32 v125, v125, v9                               // 000000005D34: 26FA137D
	v_mov_b32_dpp v142, v126 row_shl:8 row_mask:0xf bank_mask:0xf bound_ctrl:1// 000000005D38: 7F1C02FA FF09087E
	v_and_b32_e32 v126, v126, v9                               // 000000005D40: 26FC137E
	v_mov_b32_dpp v143, v127 row_shl:8 row_mask:0xf bank_mask:0xf bound_ctrl:1// 000000005D44: 7F1E02FA FF09087F
	v_and_b32_e32 v127, v127, v9                               // 000000005D4C: 26FE137F
	v_mul_f32_e32 v176, v51, v176                              // 000000005D50: 0B616133
	v_mul_f32_e32 v177, v51, v177                              // 000000005D54: 0B636333
	v_mul_f32_e32 v178, v51, v178                              // 000000005D58: 0B656533
	v_mul_f32_e32 v179, v51, v179                              // 000000005D5C: 0B676733
	v_mul_f32_e32 v180, v51, v180                              // 000000005D60: 0B696933
	v_mul_f32_e32 v181, v51, v181                              // 000000005D64: 0B6B6B33
	v_mul_f32_e32 v182, v51, v182                              // 000000005D68: 0B6D6D33
	v_mul_f32_e32 v183, v51, v183                              // 000000005D6C: 0B6F6F33
	s_waitcnt vmcnt(0)                                         // 000000005D70: BF8C0F70
	s_barrier                                                  // 000000005D74: BF8A0000
	v_mfma_f32_16x16x16_bf16 v[176:179], a[192:193], v[112:113], v[176:179]// 000000005D78: D3E100B0 0EC2E1C0
	v_mfma_f32_16x16x16_bf16 v[176:179], a[194:195], v[114:115], v[176:179]// 000000005D80: D3E100B0 0EC2E5C2
	v_mfma_f32_16x16x16_bf16 v[176:179], a[196:197], v[116:117], v[176:179]// 000000005D88: D3E100B0 0EC2E9C4
	v_mfma_f32_16x16x16_bf16 v[176:179], a[198:199], v[118:119], v[176:179]// 000000005D90: D3E100B0 0EC2EDC6
	v_mfma_f32_16x16x16_bf16 v[176:179], a[200:201], v[120:121], v[176:179]// 000000005D98: D3E100B0 0EC2F1C8
	v_mfma_f32_16x16x16_bf16 v[176:179], a[202:203], v[122:123], v[176:179]// 000000005DA0: D3E100B0 0EC2F5CA
	v_mfma_f32_16x16x16_bf16 v[176:179], a[204:205], v[124:125], v[176:179]// 000000005DA8: D3E100B0 0EC2F9CC
	v_mfma_f32_16x16x16_bf16 v[176:179], a[206:207], v[126:127], v[176:179]// 000000005DB0: D3E100B0 0EC2FDCE
	v_mfma_f32_16x16x16_bf16 v[176:179], a[208:209], v[128:129], v[176:179]// 000000005DB8: D3E100B0 0EC301D0
	v_mfma_f32_16x16x16_bf16 v[176:179], a[210:211], v[130:131], v[176:179]// 000000005DC0: D3E100B0 0EC305D2
	v_mfma_f32_16x16x16_bf16 v[176:179], a[212:213], v[132:133], v[176:179]// 000000005DC8: D3E100B0 0EC309D4
	v_mfma_f32_16x16x16_bf16 v[176:179], a[214:215], v[134:135], v[176:179]// 000000005DD0: D3E100B0 0EC30DD6
	v_mfma_f32_16x16x16_bf16 v[176:179], a[216:217], v[136:137], v[176:179]// 000000005DD8: D3E100B0 0EC311D8
	v_mfma_f32_16x16x16_bf16 v[176:179], a[218:219], v[138:139], v[176:179]// 000000005DE0: D3E100B0 0EC315DA
	v_mfma_f32_16x16x16_bf16 v[176:179], a[220:221], v[140:141], v[176:179]// 000000005DE8: D3E100B0 0EC319DC
	v_mfma_f32_16x16x16_bf16 v[176:179], a[222:223], v[142:143], v[176:179]// 000000005DF0: D3E100B0 0EC31DDE
	v_mfma_f32_16x16x16_bf16 v[180:183], a[224:225], v[112:113], v[180:183]// 000000005DF8: D3E100B4 0ED2E1E0
	v_mfma_f32_16x16x16_bf16 v[180:183], a[226:227], v[114:115], v[180:183]// 000000005E00: D3E100B4 0ED2E5E2
	v_mfma_f32_16x16x16_bf16 v[180:183], a[228:229], v[116:117], v[180:183]// 000000005E08: D3E100B4 0ED2E9E4
	v_mfma_f32_16x16x16_bf16 v[180:183], a[230:231], v[118:119], v[180:183]// 000000005E10: D3E100B4 0ED2EDE6
	v_mfma_f32_16x16x16_bf16 v[180:183], a[232:233], v[120:121], v[180:183]// 000000005E18: D3E100B4 0ED2F1E8
	v_mfma_f32_16x16x16_bf16 v[180:183], a[234:235], v[122:123], v[180:183]// 000000005E20: D3E100B4 0ED2F5EA
	v_mfma_f32_16x16x16_bf16 v[180:183], a[236:237], v[124:125], v[180:183]// 000000005E28: D3E100B4 0ED2F9EC
	v_mfma_f32_16x16x16_bf16 v[180:183], a[238:239], v[126:127], v[180:183]// 000000005E30: D3E100B4 0ED2FDEE
	v_mfma_f32_16x16x16_bf16 v[180:183], a[240:241], v[128:129], v[180:183]// 000000005E38: D3E100B4 0ED301F0
	v_mfma_f32_16x16x16_bf16 v[180:183], a[242:243], v[130:131], v[180:183]// 000000005E40: D3E100B4 0ED305F2
	v_mfma_f32_16x16x16_bf16 v[180:183], a[244:245], v[132:133], v[180:183]// 000000005E48: D3E100B4 0ED309F4
	v_mfma_f32_16x16x16_bf16 v[180:183], a[246:247], v[134:135], v[180:183]// 000000005E50: D3E100B4 0ED30DF6
	v_mfma_f32_16x16x16_bf16 v[180:183], a[248:249], v[136:137], v[180:183]// 000000005E58: D3E100B4 0ED311F8
	v_mfma_f32_16x16x16_bf16 v[180:183], a[250:251], v[138:139], v[180:183]// 000000005E60: D3E100B4 0ED315FA
	v_mfma_f32_16x16x16_bf16 v[180:183], a[252:253], v[140:141], v[180:183]// 000000005E68: D3E100B4 0ED319FC
	v_mfma_f32_16x16x16_bf16 v[180:183], a[254:255], v[142:143], v[180:183]// 000000005E70: D3E100B4 0ED31DFE
	s_nop 8                                                    // 000000005E78: BF800008
	s_branch label_0F21                                        // 000000005E7C: BF820000

0000000000005e80 <label_0F21>:
	ds_write_b32 v11, v43                                      // 000000005E80: D81A0000 00002B0B
	s_waitcnt lgkmcnt(0)                                       // 000000005E88: BF8CC07F
	s_barrier                                                  // 000000005E8C: BF8A0000
	ds_read_b32 v64, v10                                       // 000000005E90: D86C0000 4000000A
	ds_read_b32 v65, v10 offset:64                             // 000000005E98: D86C0040 4100000A
	ds_read_b32 v66, v10 offset:128                            // 000000005EA0: D86C0080 4200000A
	ds_read_b32 v67, v10 offset:192                            // 000000005EA8: D86C00C0 4300000A
	ds_read_b32 v68, v10 offset:256                            // 000000005EB0: D86C0100 4400000A
	ds_read_b32 v69, v10 offset:320                            // 000000005EB8: D86C0140 4500000A
	ds_read_b32 v70, v10 offset:384                            // 000000005EC0: D86C0180 4600000A
	ds_read_b32 v71, v10 offset:448                            // 000000005EC8: D86C01C0 4700000A
	ds_read_b32 v72, v10 offset:512                            // 000000005ED0: D86C0200 4800000A
	ds_read_b32 v73, v10 offset:576                            // 000000005ED8: D86C0240 4900000A
	ds_read_b32 v74, v10 offset:640                            // 000000005EE0: D86C0280 4A00000A
	ds_read_b32 v75, v10 offset:704                            // 000000005EE8: D86C02C0 4B00000A
	ds_read_b32 v76, v10 offset:768                            // 000000005EF0: D86C0300 4C00000A
	ds_read_b32 v77, v10 offset:832                            // 000000005EF8: D86C0340 4D00000A
	ds_read_b32 v78, v10 offset:896                            // 000000005F00: D86C0380 4E00000A
	ds_read_b32 v79, v10 offset:960                            // 000000005F08: D86C03C0 4F00000A
	s_waitcnt lgkmcnt(0)                                       // 000000005F10: BF8CC07F
	v_mov_b32_e32 v43, 0                                       // 000000005F14: 7E560280
	v_add_f32_e32 v43, v64, v43                                // 000000005F18: 02565740
	v_add_f32_e32 v43, v65, v43                                // 000000005F1C: 02565741
	v_add_f32_e32 v43, v66, v43                                // 000000005F20: 02565742
	v_add_f32_e32 v43, v67, v43                                // 000000005F24: 02565743
	v_add_f32_e32 v43, v68, v43                                // 000000005F28: 02565744
	v_add_f32_e32 v43, v69, v43                                // 000000005F2C: 02565745
	v_add_f32_e32 v43, v70, v43                                // 000000005F30: 02565746
	v_add_f32_e32 v43, v71, v43                                // 000000005F34: 02565747
	v_add_f32_e32 v43, v72, v43                                // 000000005F38: 02565748
	v_add_f32_e32 v43, v73, v43                                // 000000005F3C: 02565749
	v_add_f32_e32 v43, v74, v43                                // 000000005F40: 0256574A
	v_add_f32_e32 v43, v75, v43                                // 000000005F44: 0256574B
	v_add_f32_e32 v43, v76, v43                                // 000000005F48: 0256574C
	v_add_f32_e32 v43, v77, v43                                // 000000005F4C: 0256574D
	v_add_f32_e32 v43, v78, v43                                // 000000005F50: 0256574E
	v_add_f32_e32 v43, v79, v43                                // 000000005F54: 0256574F
	s_nop 1                                                    // 000000005F58: BF800001
	v_mov_b32_dpp v39, v43 row_ror:8 row_mask:0xf bank_mask:0xf// 000000005F5C: 7E4E02FA FF01282B
	v_add_f32_e32 v43, v43, v39                                // 000000005F64: 02564F2B
	v_rcp_f32_e32 v43, v43                                     // 000000005F68: 7E56452B
	s_nop 1                                                    // 000000005F6C: BF800001
	v_mul_f32_e32 v176, v43, v176                              // 000000005F70: 0B61612B
	v_mul_f32_e32 v177, v43, v177                              // 000000005F74: 0B63632B
	v_mul_f32_e32 v178, v43, v178                              // 000000005F78: 0B65652B
	v_mul_f32_e32 v179, v43, v179                              // 000000005F7C: 0B67672B
	v_mul_f32_e32 v180, v43, v180                              // 000000005F80: 0B69692B
	v_mul_f32_e32 v181, v43, v181                              // 000000005F84: 0B6B6B2B
	v_mul_f32_e32 v182, v43, v182                              // 000000005F88: 0B6D6D2B
	v_mul_f32_e32 v183, v43, v183                              // 000000005F8C: 0B6F6F2B
	v_cmp_u_f32_e64 s[40:41], v176, v176                       // 000000005F90: D0480028 000361B0
	v_add3_u32 v19, v176, v22, 1                               // 000000005F98: D1FF0013 02062DB0
	v_cndmask_b32_e64 v39, v19, v21, s[40:41]                  // 000000005FA0: D1000027 00A22B13
	v_cmp_u_f32_e64 s[40:41], v177, v177                       // 000000005FA8: D0480028 000363B1
	v_add3_u32 v19, v177, v22, 1                               // 000000005FB0: D1FF0013 02062DB1
	v_cndmask_b32_e64 v40, v19, v21, s[40:41]                  // 000000005FB8: D1000028 00A22B13
	v_perm_b32 v176, v40, v39, s52                             // 000000005FC0: D1ED00B0 00D24F28
	v_cmp_u_f32_e64 s[40:41], v178, v178                       // 000000005FC8: D0480028 000365B2
	v_add3_u32 v19, v178, v22, 1                               // 000000005FD0: D1FF0013 02062DB2
	v_cndmask_b32_e64 v39, v19, v21, s[40:41]                  // 000000005FD8: D1000027 00A22B13
	v_cmp_u_f32_e64 s[40:41], v179, v179                       // 000000005FE0: D0480028 000367B3
	v_add3_u32 v19, v179, v22, 1                               // 000000005FE8: D1FF0013 02062DB3
	v_cndmask_b32_e64 v40, v19, v21, s[40:41]                  // 000000005FF0: D1000028 00A22B13
	v_perm_b32 v177, v40, v39, s52                             // 000000005FF8: D1ED00B1 00D24F28
	v_cmp_u_f32_e64 s[40:41], v180, v180                       // 000000006000: D0480028 000369B4
	v_add3_u32 v19, v180, v22, 1                               // 000000006008: D1FF0013 02062DB4
	v_cndmask_b32_e64 v39, v19, v21, s[40:41]                  // 000000006010: D1000027 00A22B13
	v_cmp_u_f32_e64 s[40:41], v181, v181                       // 000000006018: D0480028 00036BB5
	v_add3_u32 v19, v181, v22, 1                               // 000000006020: D1FF0013 02062DB5
	v_cndmask_b32_e64 v40, v19, v21, s[40:41]                  // 000000006028: D1000028 00A22B13
	v_perm_b32 v178, v40, v39, s52                             // 000000006030: D1ED00B2 00D24F28
	v_cmp_u_f32_e64 s[40:41], v182, v182                       // 000000006038: D0480028 00036DB6
	v_add3_u32 v19, v182, v22, 1                               // 000000006040: D1FF0013 02062DB6
	v_cndmask_b32_e64 v39, v19, v21, s[40:41]                  // 000000006048: D1000027 00A22B13
	v_cmp_u_f32_e64 s[40:41], v183, v183                       // 000000006050: D0480028 00036FB7
	v_add3_u32 v19, v183, v22, 1                               // 000000006058: D1FF0013 02062DB7
	v_cndmask_b32_e64 v40, v19, v21, s[40:41]                  // 000000006060: D1000028 00A22B13
	v_perm_b32 v179, v40, v39, s52                             // 000000006068: D1ED00B3 00D24F28
	v_lshrrev_b32_e32 v39, 4, v0                               // 000000006070: 204E0084
	v_mul_i32_i24_e32 v5, 34, v39                              // 000000006074: 0C0A4EA2
	v_and_b32_e32 v39, 15, v0                                  // 000000006078: 264E008F
	v_mul_i32_i24_e32 v40, 2, v39                              // 00000000607C: 0C504E82
	v_add_u32_e32 v5, v40, v5                                  // 000000006080: 680A0B28
	s_mul_i32 s60, s7, 0x88                                    // 000000006084: 923CFF07 00000088
	v_add_u32_e32 v5, s60, v5                                  // 00000000608C: 680A0A3C
	v_lshlrev_b32_e32 v5, 2, v5                                // 000000006090: 240A0A82
	ds_write_b64 v5, v[176:177] offset:36864                   // 000000006094: D89A9000 0000B005
	ds_write_b64 v5, v[178:179] offset:39040                   // 00000000609C: D89A9880 0000B205
	v_lshrrev_b32_e32 v39, 1, v0                               // 0000000060A4: 204E0081
	v_mul_i32_i24_e32 v5, 34, v39                              // 0000000060A8: 0C0A4EA2
	v_and_b32_e32 v40, 1, v0                                   // 0000000060AC: 26500081
	v_add_u32_e32 v5, v40, v5                                  // 0000000060B0: 680A0B28
	s_mul_i32 s60, s7, 2                                       // 0000000060B4: 923C8207
	v_add_u32_e32 v5, s60, v5                                  // 0000000060B8: 680A0A3C
	v_lshlrev_b32_e32 v5, 2, v5                                // 0000000060BC: 240A0A82
	s_waitcnt lgkmcnt(0)                                       // 0000000060C0: BF8CC07F
	s_barrier                                                  // 0000000060C4: BF8A0000
	ds_read_b32 v176, v5 offset:36864                          // 0000000060C8: D86C9000 B0000005
	ds_read_b32 v177, v5 offset:36896                          // 0000000060D0: D86C9020 B1000005
	s_waitcnt lgkmcnt(0)                                       // 0000000060D8: BF8CC07F
	buffer_store_dword v176, v8, s[8:11], 0 offen              // 0000000060DC: E0701000 8002B008
	buffer_store_dword v177, v8, s[8:11], 0 offen offset:1024  // 0000000060E4: E0701400 8002B108
	s_branch label_3B18                                        // 0000000060EC: BF822B5B

00000000000060f0 <label_0FBD>:
	s_mul_i32 s60, s3, s65                                     // 0000000060F0: 923C4103
	s_mul_i32 s60, s60, 4                                      // 0000000060F4: 923C843C
	s_add_u32 s24, s60, s24                                    // 0000000060F8: 8018183C
	s_addc_u32 s25, 0, s25                                     // 0000000060FC: 82191980
	s_mov_b32 s56, 64                                          // 000000006100: BEB800C0
	s_waitcnt lgkmcnt(0)                                       // 000000006104: BF8CC07F
	s_add_u32 s73, s72, 15                                     // 000000006108: 80498F48
	s_lshr_b32 s73, s73, 4                                     // 00000000610C: 8F498449
	s_mul_i32 s60, s73, 4                                      // 000000006110: 923C8449
	s_mov_b32 s26, s60                                         // 000000006114: BE9A003C
	v_and_b32_e32 v40, 3, v0                                   // 000000006118: 26500083
	v_cmp_eq_u32_e64 s[60:61], 0, v40                          // 00000000611C: D0CA003C 00025080
	v_and_b32_e32 v39, 12, v0                                  // 000000006124: 264E008C
	v_add_u32_e32 v1, s7, v39                                  // 000000006128: 68024E07
	v_cndmask_b32_e64 v1, 0, v1, s[60:61]                      // 00000000612C: D1000001 00F20280
	v_and_b32_e32 v40, 3, v0                                   // 000000006134: 26500083
	v_cmp_eq_u32_e64 s[60:61], 0, v40                          // 000000006138: D0CA003C 00025080
	v_lshrrev_b32_e32 v39, 5, v0                               // 000000006140: 204E0085
	v_and_b32_e32 v40, 14, v0                                  // 000000006144: 2650008E
	v_add_u32_e32 v39, v40, v39                                // 000000006148: 684E4F28
	v_cndmask_b32_e64 v39, v39, 0, s[60:61]                    // 00000000614C: D1000027 00F10127
	v_add_u32_e32 v1, v1, v39                                  // 000000006154: 68024F01
	v_lshlrev_b32_e32 v1, 2, v1                                // 000000006158: 24020282
	v_writelane_b32 v1, 56, 7                                  // 00000000615C: D28A0001 00010EB8
	v_writelane_b32 v1, 56, 23                                 // 000000006164: D28A0001 00012EB8
	v_writelane_b32 v1, 60, 39                                 // 00000000616C: D28A0001 00014EBC
	v_writelane_b32 v1, 60, 55                                 // 000000006174: D28A0001 00016EBC
	buffer_load_dword v17, v1, s[24:27], 0 offen               // 00000000617C: E0501000 80061101
	v_add_u32_e32 v1, s56, v1                                  // 000000006184: 68020238
	buffer_load_dword v18, v1, s[24:27], 0 offen               // 000000006188: E0501000 80061201
	s_cmp_le_u32 s73, 32                                       // 000000006190: BF0BA049
	s_cselect_b32 s56, 0, s56                                  // 000000006194: 85383880
	s_mul_i32 s61, s2, s67                                     // 000000006198: 923D4302
	s_mul_i32 s60, s84, s74                                    // 00000000619C: 923C4A54
	s_add_u32 s60, s60, s61                                    // 0000000061A0: 803C3D3C
	s_add_u32 s12, s60, s12                                    // 0000000061A4: 800C0C3C
	s_addc_u32 s13, 0, s13                                     // 0000000061A8: 820D0D80
	s_mul_i32 s60, s7, 0x420                                   // 0000000061AC: 923CFF07 00000420
	s_add_u32 m0, 0, s60                                       // 0000000061B4: 807C3C80
	s_mul_i32 s60, s7, 0x100                                   // 0000000061B8: 923CFF07 00000100
	v_lshlrev_b32_e32 v39, 2, v0                               // 0000000061C0: 244E0082
	v_add_u32_e64 v39, v39, s60                                // 0000000061C4: D1340027 00007927
	v_add_u32_e32 v40, 0x400, v39                              // 0000000061CC: 68504EFF 00000400
	buffer_load_dword v39, s[12:15], 0 offen lds               // 0000000061D4: E0511000 80030027
	s_add_u32 m0, m0, 0x100                                    // 0000000061DC: 807CFF7C 00000100
	buffer_load_dword v40, s[12:15], 0 offen lds               // 0000000061E4: E0511000 80030028
	s_add_u32 m0, m0, 0x100                                    // 0000000061EC: 807CFF7C 00000100
	s_add_u32 s12, s74, s12                                    // 0000000061F4: 800C0C4A
	s_addc_u32 s13, 0, s13                                     // 0000000061F8: 820D0D80
	buffer_load_dword v39, s[12:15], 0 offen lds               // 0000000061FC: E0511000 80030027
	s_add_u32 m0, m0, 0x100                                    // 000000006204: 807CFF7C 00000100
	buffer_load_dword v40, s[12:15], 0 offen lds               // 00000000620C: E0511000 80030028
	s_add_u32 m0, m0, 0x100                                    // 000000006214: 807CFF7C 00000100
	s_mul_i32 s61, s2, s76                                     // 00000000621C: 923D4C02
	s_mul_i32 s60, s84, s75                                    // 000000006220: 923C4B54
	s_add_u32 s60, s60, s61                                    // 000000006224: 803C3D3C
	s_add_u32 s8, s60, s8                                      // 000000006228: 8008083C
	s_addc_u32 s9, 0, s9                                       // 00000000622C: 82090980
	s_mul_i32 s60, s7, 0x100                                   // 000000006230: 923CFF07 00000100
	v_lshlrev_b32_e32 v8, 2, v0                                // 000000006238: 24100082
	v_add_u32_e64 v8, v8, s60                                  // 00000000623C: D1340008 00007908
	s_mov_b32 s70, 0                                           // 000000006244: BEC60080
	s_and_b32 s71, s72, 0xffffff00                             // 000000006248: 8647FF48 FFFFFF00
	v_mov_b32_e32 v54, s68                                     // 000000006250: 7E6C0244
	v_mov_b32_e32 v9, -1                                       // 000000006254: 7E1202C1
	s_mov_b32 s52, 0x7060302                                   // 000000006258: BEB400FF 07060302
	s_mov_b32 s53, 0x400                                       // 000000006260: BEB500FF 00000400
	s_mov_b32 s54, 0x40100                                     // 000000006268: BEB600FF 00040100
	s_mov_b32 s55, 0x4020100                                   // 000000006270: BEB700FF 04020100
	v_mov_b32_dpp v9, v9 row_shl:8 row_mask:0xf bank_mask:0xf bound_ctrl:1// 000000006278: 7E1202FA FF090809
	s_mov_b32 s6, 0x3fb8aa3b                                   // 000000006280: BE8600FF 3FB8AA3B
	v_mov_b32_e32 v14, 0xff800000                              // 000000006288: 7E1C02FF FF800000
	v_mov_b32_e32 v55, 0xff800000                              // 000000006290: 7E6E02FF FF800000
	v_mov_b32_e32 v51, 0                                       // 000000006298: 7E660280
	v_mov_b32_e32 v43, 0                                       // 00000000629C: 7E560280
	v_mov_b32_e32 v20, 0xffff0000                              // 0000000062A0: 7E2802FF FFFF0000
	v_mov_b32_e32 v21, 0x7fff0000                              // 0000000062A8: 7E2A02FF 7FFF0000
	v_mov_b32_e32 v22, 0x7fff                                  // 0000000062B0: 7E2C02FF 00007FFF
	v_add_u32_e32 v1, s56, v1                                  // 0000000062B8: 68020238
	v_and_b32_e32 v10, 15, v0                                  // 0000000062BC: 2614008F
	v_lshlrev_b32_e32 v10, 2, v10                              // 0000000062C0: 24141482
	v_lshlrev_b32_e32 v11, 2, v0                               // 0000000062C4: 24160082
	s_mul_i32 s60, 0x100, s7                                   // 0000000062C8: 923C07FF 00000100
	v_add_u32_e32 v11, s60, v11                                // 0000000062D0: 6816163C
	v_lshrrev_b32_e32 v39, 4, v0                               // 0000000062D4: 204E0084
	v_lshlrev_b32_e32 v40, 6, v39                              // 0000000062D8: 24504E86
	v_and_b32_e32 v39, 15, v0                                  // 0000000062DC: 264E008F
	v_lshlrev_b32_e32 v39, 1, v39                              // 0000000062E0: 244E4E81
	v_add_u32_e32 v40, v39, v40                                // 0000000062E4: 68505127
	v_lshlrev_b32_e32 v12, 2, v40                              // 0000000062E8: 24185082
	v_lshlrev_b32_e32 v39, 3, v0                               // 0000000062EC: 244E0083
	s_mul_i32 s60, 0x200, s7                                   // 0000000062F0: 923C07FF 00000200
	v_add_u32_e64 v13, v39, s60                                // 0000000062F8: D134000D 00007927
	v_lshlrev_b32_e32 v6, 4, v0                                // 000000006300: 240C0084
	s_mul_i32 s60, s2, s69                                     // 000000006304: 923C4502
	s_add_u32 s16, s60, s16                                    // 000000006308: 8010103C
	s_addc_u32 s17, 0, s17                                     // 00000000630C: 82111180
	v_and_b32_e32 v39, 15, v0                                  // 000000006310: 264E008F
	v_lshlrev_b32_e32 v7, 4, v39                               // 000000006314: 240E4E84
	v_and_b32_e32 v39, 31, v0                                  // 000000006318: 264E009F
	v_lshrrev_b32_e32 v39, 4, v39                              // 00000000631C: 204E4E84
	v_mul_i32_i24_e32 v39, 0x800, v39                          // 000000006320: 0C4E4EFF 00000800
	v_add_u32_e32 v7, v39, v7                                  // 000000006328: 680E0F27
	s_mul_i32 s61, s2, s69                                     // 00000000632C: 923D4502
	s_mul_i32 s60, s7, 0x100                                   // 000000006330: 923CFF07 00000100
	s_add_u32 s60, s60, s61                                    // 000000006338: 803C3D3C
	s_add_u32 s20, s60, s20                                    // 00000000633C: 8014143C
	s_addc_u32 s21, 0, s21                                     // 000000006340: 82151580
	s_waitcnt vmcnt(4)                                         // 000000006344: BF8C0F74
	v_mul_u32_u24_dpp v39, v17, v54 row_newbcast:0 row_mask:0xf bank_mask:0xf// 000000006348: 104E6CFA FF015011
	v_mul_u32_u24_dpp v40, v17, v54 row_newbcast:4 row_mask:0xf bank_mask:0xf// 000000006350: 10506CFA FF015411
	v_mul_u32_u24_dpp v41, v17, v54 row_newbcast:8 row_mask:0xf bank_mask:0xf// 000000006358: 10526CFA FF015811
	v_mul_u32_u24_dpp v42, v17, v54 row_newbcast:12 row_mask:0xf bank_mask:0xf// 000000006360: 10546CFA FF015C11
	v_add_u32_e32 v23, v39, v6                                 // 000000006368: 682E0D27
	v_add_u32_e32 v24, v40, v6                                 // 00000000636C: 68300D28
	v_add_u32_e32 v25, v41, v6                                 // 000000006370: 68320D29
	v_add_u32_e32 v26, v42, v6                                 // 000000006374: 68340D2A
	v_mul_u32_u24_dpp v39, v17, v54 row_newbcast:1 row_mask:0xf bank_mask:0xf// 000000006378: 104E6CFA FF015111
	v_mul_u32_u24_dpp v40, v17, v54 row_newbcast:2 row_mask:0xf bank_mask:0xf// 000000006380: 10506CFA FF015211
	v_mul_u32_u24_dpp v41, v17, v54 row_newbcast:5 row_mask:0xf bank_mask:0xf// 000000006388: 10526CFA FF015511
	v_mul_u32_u24_dpp v42, v17, v54 row_newbcast:6 row_mask:0xf bank_mask:0xf// 000000006390: 10546CFA FF015611
	v_add_u32_e32 v192, v39, v7                                // 000000006398: 69800F27
	v_add_u32_e32 v193, v40, v7                                // 00000000639C: 69820F28
	v_add_u32_e32 v194, v41, v7                                // 0000000063A0: 69840F29
	v_add_u32_e32 v195, v42, v7                                // 0000000063A4: 69860F2A
	v_mul_u32_u24_dpp v39, v17, v54 row_newbcast:9 row_mask:0xf bank_mask:0xf// 0000000063A8: 104E6CFA FF015911
	v_mul_u32_u24_dpp v40, v17, v54 row_newbcast:10 row_mask:0xf bank_mask:0xf// 0000000063B0: 10506CFA FF015A11
	v_mul_u32_u24_dpp v41, v17, v54 row_newbcast:13 row_mask:0xf bank_mask:0xf// 0000000063B8: 10526CFA FF015D11
	v_mul_u32_u24_dpp v42, v17, v54 row_newbcast:7 row_mask:0xf bank_mask:0xf// 0000000063C0: 10546CFA FF015711
	v_add_u32_e32 v196, v39, v7                                // 0000000063C8: 69880F27
	v_add_u32_e32 v197, v40, v7                                // 0000000063CC: 698A0F28
	v_add_u32_e32 v198, v41, v7                                // 0000000063D0: 698C0F29
	v_add_u32_e32 v199, v42, v7                                // 0000000063D4: 698E0F2A
	buffer_load_dwordx4 a[0:3], v23, s[16:19], 0 offen         // 0000000063D8: E05C1000 80840017
	buffer_load_dwordx4 a[4:7], v23, s[16:19], 0 offen offset:1024// 0000000063E0: E05C1400 80840417
	buffer_load_dwordx4 a[8:11], v23, s[16:19], 0 offen offset:2048// 0000000063E8: E05C1800 80840817
	buffer_load_dwordx4 a[12:15], v23, s[16:19], 0 offen offset:3072// 0000000063F0: E05C1C00 80840C17
	buffer_load_dwordx4 a[16:19], v24, s[16:19], 0 offen       // 0000000063F8: E05C1000 80841018
	buffer_load_dwordx4 a[20:23], v24, s[16:19], 0 offen offset:1024// 000000006400: E05C1400 80841418
	buffer_load_dwordx4 a[24:27], v24, s[16:19], 0 offen offset:2048// 000000006408: E05C1800 80841818
	buffer_load_dwordx4 a[28:31], v24, s[16:19], 0 offen offset:3072// 000000006410: E05C1C00 80841C18
	buffer_load_dwordx4 a[32:35], v25, s[16:19], 0 offen       // 000000006418: E05C1000 80842019
	buffer_load_dwordx4 a[36:39], v25, s[16:19], 0 offen offset:1024// 000000006420: E05C1400 80842419
	buffer_load_dwordx4 a[40:43], v25, s[16:19], 0 offen offset:2048// 000000006428: E05C1800 80842819
	buffer_load_dwordx4 a[44:47], v25, s[16:19], 0 offen offset:3072// 000000006430: E05C1C00 80842C19
	buffer_load_dwordx4 a[48:51], v26, s[16:19], 0 offen       // 000000006438: E05C1000 8084301A
	buffer_load_dwordx4 a[52:55], v26, s[16:19], 0 offen offset:1024// 000000006440: E05C1400 8084341A
	buffer_load_dwordx4 a[56:59], v26, s[16:19], 0 offen offset:2048// 000000006448: E05C1800 8084381A
	buffer_load_dwordx4 a[60:63], v26, s[16:19], 0 offen offset:3072// 000000006450: E05C1C00 80843C1A
	buffer_load_dwordx4 a[128:131], v192, s[20:23], 0 offen    // 000000006458: E05C1000 808580C0
	buffer_load_dwordx4 a[132:135], v193, s[20:23], 0 offen    // 000000006460: E05C1000 808584C1
	buffer_load_dwordx4 a[136:139], v194, s[20:23], 0 offen    // 000000006468: E05C1000 808588C2
	buffer_load_dwordx4 a[140:143], v195, s[20:23], 0 offen    // 000000006470: E05C1000 80858CC3
	buffer_load_dwordx4 a[144:147], v196, s[20:23], 0 offen    // 000000006478: E05C1000 808590C4
	buffer_load_dwordx4 a[148:151], v197, s[20:23], 0 offen    // 000000006480: E05C1000 808594C5
	buffer_load_dwordx4 a[152:155], v198, s[20:23], 0 offen    // 000000006488: E05C1000 808598C6
	buffer_load_dwordx4 a[156:159], v199, s[20:23], 0 offen    // 000000006490: E05C1000 80859CC7
	buffer_load_dwordx4 a[160:163], v192, s[20:23], 0 offen offset:1024// 000000006498: E05C1400 8085A0C0
	buffer_load_dwordx4 a[164:167], v193, s[20:23], 0 offen offset:1024// 0000000064A0: E05C1400 8085A4C1
	buffer_load_dwordx4 a[168:171], v194, s[20:23], 0 offen offset:1024// 0000000064A8: E05C1400 8085A8C2
	buffer_load_dwordx4 a[172:175], v195, s[20:23], 0 offen offset:1024// 0000000064B0: E05C1400 8085ACC3
	buffer_load_dwordx4 a[176:179], v196, s[20:23], 0 offen offset:1024// 0000000064B8: E05C1400 8085B0C4
	buffer_load_dwordx4 a[180:183], v197, s[20:23], 0 offen offset:1024// 0000000064C0: E05C1400 8085B4C5
	buffer_load_dwordx4 a[184:187], v198, s[20:23], 0 offen offset:1024// 0000000064C8: E05C1400 8085B8C6
	buffer_load_dwordx4 a[188:191], v199, s[20:23], 0 offen offset:1024// 0000000064D0: E05C1400 8085BCC7
	v_lshrrev_b32_e32 v39, 4, v0                               // 0000000064D8: 204E0084
	v_lshlrev_b32_e32 v40, 2, v39                              // 0000000064DC: 24504E82
	v_and_b32_e32 v39, 15, v0                                  // 0000000064E0: 264E008F
	v_lshrrev_b32_e32 v41, 2, v39                              // 0000000064E4: 20524E82
	v_lshlrev_b32_e32 v41, 6, v41                              // 0000000064E8: 24525286
	v_add_u32_e32 v40, v41, v40                                // 0000000064EC: 68505129
	v_and_b32_e32 v39, 3, v0                                   // 0000000064F0: 264E0083
	v_mul_i32_i24_e32 v41, 0x108, v39                          // 0000000064F4: 0C524EFF 00000108
	v_add_u32_e32 v40, v41, v40                                // 0000000064FC: 68505129
	v_lshlrev_b32_e32 v4, 2, v40                               // 000000006500: 24085082
	s_waitcnt vmcnt(32) lgkmcnt(0)                             // 000000006504: BF8C8070
	s_barrier                                                  // 000000006508: BF8A0000
	ds_read_b128 v[80:83], v4                                  // 00000000650C: D9FE0000 50000004
	ds_read_b128 v[84:87], v4 offset:64                        // 000000006514: D9FE0040 54000004
	ds_read_b128 v[88:91], v4 offset:128                       // 00000000651C: D9FE0080 58000004
	ds_read_b128 v[92:95], v4 offset:192                       // 000000006524: D9FE00C0 5C000004
	v_mov_b32_e32 v176, 0                                      // 00000000652C: 7F600280
	v_mov_b32_e32 v177, 0                                      // 000000006530: 7F620280
	v_mov_b32_e32 v178, 0                                      // 000000006534: 7F640280
	v_mov_b32_e32 v179, 0                                      // 000000006538: 7F660280
	v_mov_b32_e32 v180, 0                                      // 00000000653C: 7F680280
	v_mov_b32_e32 v181, 0                                      // 000000006540: 7F6A0280
	v_mov_b32_e32 v182, 0                                      // 000000006544: 7F6C0280
	v_mov_b32_e32 v183, 0                                      // 000000006548: 7F6E0280
	s_waitcnt vmcnt(16) lgkmcnt(0)                             // 00000000654C: BF8C4070
	s_barrier                                                  // 000000006550: BF8A0000
	v_mul_u32_u24_dpp v39, v18, v54 row_newbcast:0 row_mask:0xf bank_mask:0xf// 000000006554: 104E6CFA FF015012
	v_mul_u32_u24_dpp v40, v18, v54 row_newbcast:4 row_mask:0xf bank_mask:0xf// 00000000655C: 10506CFA FF015412
	v_mul_u32_u24_dpp v41, v18, v54 row_newbcast:8 row_mask:0xf bank_mask:0xf// 000000006564: 10526CFA FF015812
	v_mul_u32_u24_dpp v42, v18, v54 row_newbcast:12 row_mask:0xf bank_mask:0xf// 00000000656C: 10546CFA FF015C12
	v_add_u32_e32 v27, v39, v6                                 // 000000006574: 68360D27
	v_add_u32_e32 v28, v40, v6                                 // 000000006578: 68380D28
	v_add_u32_e32 v29, v41, v6                                 // 00000000657C: 683A0D29
	v_add_u32_e32 v30, v42, v6                                 // 000000006580: 683C0D2A
	v_mul_u32_u24_dpp v39, v18, v54 row_newbcast:1 row_mask:0xf bank_mask:0xf// 000000006584: 104E6CFA FF015112
	v_mul_u32_u24_dpp v40, v18, v54 row_newbcast:2 row_mask:0xf bank_mask:0xf// 00000000658C: 10506CFA FF015212
	v_mul_u32_u24_dpp v41, v18, v54 row_newbcast:5 row_mask:0xf bank_mask:0xf// 000000006594: 10526CFA FF015512
	v_mul_u32_u24_dpp v42, v18, v54 row_newbcast:6 row_mask:0xf bank_mask:0xf// 00000000659C: 10546CFA FF015612
	v_add_u32_e32 v200, v39, v7                                // 0000000065A4: 69900F27
	v_add_u32_e32 v201, v40, v7                                // 0000000065A8: 69920F28
	v_add_u32_e32 v202, v41, v7                                // 0000000065AC: 69940F29
	v_add_u32_e32 v203, v42, v7                                // 0000000065B0: 69960F2A
	v_mul_u32_u24_dpp v39, v18, v54 row_newbcast:9 row_mask:0xf bank_mask:0xf// 0000000065B4: 104E6CFA FF015912
	v_mul_u32_u24_dpp v40, v18, v54 row_newbcast:10 row_mask:0xf bank_mask:0xf// 0000000065BC: 10506CFA FF015A12
	v_mul_u32_u24_dpp v41, v18, v54 row_newbcast:13 row_mask:0xf bank_mask:0xf// 0000000065C4: 10526CFA FF015D12
	v_mul_u32_u24_dpp v42, v18, v54 row_newbcast:7 row_mask:0xf bank_mask:0xf// 0000000065CC: 10546CFA FF015712
	v_add_u32_e32 v204, v39, v7                                // 0000000065D4: 69980F27
	v_add_u32_e32 v205, v40, v7                                // 0000000065D8: 699A0F28
	v_add_u32_e32 v206, v41, v7                                // 0000000065DC: 699C0F29
	v_add_u32_e32 v207, v42, v7                                // 0000000065E0: 699E0F2A
	s_cmp_lt_u32 s73, 16                                       // 0000000065E4: BF0A9049
	s_cbranch_scc1 label_19A2                                  // 0000000065E8: BF8508A6
	s_cmp_lt_i32 s7, 2                                         // 0000000065EC: BF048207
	s_cbranch_scc0 label_1550                                  // 0000000065F0: BF840452

00000000000065f4 <label_10FE>:
	s_waitcnt vmcnt(16) lgkmcnt(0)                             // 0000000065F4: BF8C4070
	v_mfma_f32_16x16x16_bf16 v[112:115], a[0:1], v[80:81], 0   // 0000000065F8: D3E10070 0A02A100
	v_mfma_f32_16x16x16_bf16 v[112:115], a[2:3], v[82:83], v[112:115]// 000000006600: D3E10070 0DC2A502
	buffer_load_dwordx4 a[64:67], v27, s[16:19], 0 offen       // 000000006608: E05C1000 8084401B
	v_mfma_f32_16x16x16_bf16 v[112:115], a[4:5], v[84:85], v[112:115]// 000000006610: D3E10070 0DC2A904
	v_mfma_f32_16x16x16_bf16 v[112:115], a[6:7], v[86:87], v[112:115]// 000000006618: D3E10070 0DC2AD06
	buffer_load_dword v17, v1, s[24:27], 0 offen               // 000000006620: E0501000 80061101
	v_mfma_f32_16x16x16_bf16 v[112:115], a[8:9], v[88:89], v[112:115]// 000000006628: D3E10070 0DC2B108
	v_mfma_f32_16x16x16_bf16 v[112:115], a[10:11], v[90:91], v[112:115]// 000000006630: D3E10070 0DC2B50A
	buffer_load_dwordx4 a[68:71], v27, s[16:19], 0 offen offset:1024// 000000006638: E05C1400 8084441B
	v_mfma_f32_16x16x16_bf16 v[112:115], a[12:13], v[92:93], v[112:115]// 000000006640: D3E10070 0DC2B90C
	v_mfma_f32_16x16x16_bf16 v[112:115], a[14:15], v[94:95], v[112:115]// 000000006648: D3E10070 0DC2BD0E
	v_mfma_f32_16x16x16_bf16 v[116:119], a[16:17], v[80:81], 0 // 000000006650: D3E10074 0A02A110
	v_mfma_f32_16x16x16_bf16 v[116:119], a[18:19], v[82:83], v[116:119]// 000000006658: D3E10074 0DD2A512
	buffer_load_dwordx4 a[72:75], v27, s[16:19], 0 offen offset:2048// 000000006660: E05C1800 8084481B
	v_mfma_f32_16x16x16_bf16 v[116:119], a[20:21], v[84:85], v[116:119]// 000000006668: D3E10074 0DD2A914
	v_mfma_f32_16x16x16_bf16 v[116:119], a[22:23], v[86:87], v[116:119]// 000000006670: D3E10074 0DD2AD16
	v_mfma_f32_16x16x16_bf16 v[116:119], a[24:25], v[88:89], v[116:119]// 000000006678: D3E10074 0DD2B118
	v_mfma_f32_16x16x16_bf16 v[116:119], a[26:27], v[90:91], v[116:119]// 000000006680: D3E10074 0DD2B51A
	buffer_load_dwordx4 a[76:79], v27, s[16:19], 0 offen offset:3072// 000000006688: E05C1C00 80844C1B
	v_mfma_f32_16x16x16_bf16 v[116:119], a[28:29], v[92:93], v[116:119]// 000000006690: D3E10074 0DD2B91C
	v_mfma_f32_16x16x16_bf16 v[116:119], a[30:31], v[94:95], v[116:119]// 000000006698: D3E10074 0DD2BD1E
	v_mfma_f32_16x16x16_bf16 v[120:123], a[32:33], v[80:81], 0 // 0000000066A0: D3E10078 0A02A120
	v_mfma_f32_16x16x16_bf16 v[120:123], a[34:35], v[82:83], v[120:123]// 0000000066A8: D3E10078 0DE2A522
	buffer_load_dwordx4 a[80:83], v28, s[16:19], 0 offen       // 0000000066B0: E05C1000 8084501C
	v_mfma_f32_16x16x16_bf16 v[120:123], a[36:37], v[84:85], v[120:123]// 0000000066B8: D3E10078 0DE2A924
	v_mfma_f32_16x16x16_bf16 v[120:123], a[38:39], v[86:87], v[120:123]// 0000000066C0: D3E10078 0DE2AD26
	v_mfma_f32_16x16x16_bf16 v[120:123], a[40:41], v[88:89], v[120:123]// 0000000066C8: D3E10078 0DE2B128
	v_mfma_f32_16x16x16_bf16 v[120:123], a[42:43], v[90:91], v[120:123]// 0000000066D0: D3E10078 0DE2B52A
	buffer_load_dwordx4 a[84:87], v28, s[16:19], 0 offen offset:1024// 0000000066D8: E05C1400 8084541C
	v_mfma_f32_16x16x16_bf16 v[120:123], a[44:45], v[92:93], v[120:123]// 0000000066E0: D3E10078 0DE2B92C
	v_mfma_f32_16x16x16_bf16 v[120:123], a[46:47], v[94:95], v[120:123]// 0000000066E8: D3E10078 0DE2BD2E
	v_mfma_f32_16x16x16_bf16 v[124:127], a[48:49], v[80:81], 0 // 0000000066F0: D3E1007C 0A02A130
	v_mfma_f32_16x16x16_bf16 v[124:127], a[50:51], v[82:83], v[124:127]// 0000000066F8: D3E1007C 0DF2A532
	buffer_load_dwordx4 a[88:91], v28, s[16:19], 0 offen offset:2048// 000000006700: E05C1800 8084581C
	v_mfma_f32_16x16x16_bf16 v[124:127], a[52:53], v[84:85], v[124:127]// 000000006708: D3E1007C 0DF2A934
	v_mfma_f32_16x16x16_bf16 v[124:127], a[54:55], v[86:87], v[124:127]// 000000006710: D3E1007C 0DF2AD36
	v_mfma_f32_16x16x16_bf16 v[124:127], a[56:57], v[88:89], v[124:127]// 000000006718: D3E1007C 0DF2B138
	v_mfma_f32_16x16x16_bf16 v[124:127], a[58:59], v[90:91], v[124:127]// 000000006720: D3E1007C 0DF2B53A
	buffer_load_dwordx4 a[92:95], v28, s[16:19], 0 offen offset:3072// 000000006728: E05C1C00 80845C1C
	v_mfma_f32_16x16x16_bf16 v[124:127], a[60:61], v[92:93], v[124:127]// 000000006730: D3E1007C 0DF2B93C
	v_mfma_f32_16x16x16_bf16 v[124:127], a[62:63], v[94:95], v[124:127]// 000000006738: D3E1007C 0DF2BD3E
	buffer_load_dwordx4 a[96:99], v29, s[16:19], 0 offen       // 000000006740: E05C1000 8084601D
	s_nop 8                                                    // 000000006748: BF800008
	buffer_load_dwordx4 a[100:103], v29, s[16:19], 0 offen offset:1024// 00000000674C: E05C1400 8084641D
	v_mov_b32_e32 v50, v112                                    // 000000006754: 7E640370
	v_max3_f32 v50, v112, v113, v50                            // 000000006758: D1D30032 04CAE370
	v_max3_f32 v50, v114, v115, v50                            // 000000006760: D1D30032 04CAE772
	v_max3_f32 v50, v116, v117, v50                            // 000000006768: D1D30032 04CAEB74
	v_max3_f32 v50, v118, v119, v50                            // 000000006770: D1D30032 04CAEF76
	v_max3_f32 v50, v120, v121, v50                            // 000000006778: D1D30032 04CAF378
	v_max3_f32 v50, v122, v123, v50                            // 000000006780: D1D30032 04CAF77A
	v_max3_f32 v50, v124, v125, v50                            // 000000006788: D1D30032 04CAFB7C
	v_max3_f32 v50, v126, v127, v50                            // 000000006790: D1D30032 04CAFF7E
	ds_write_b32 v11, v50                                      // 000000006798: D81A0000 0000320B
	buffer_load_dwordx4 a[104:107], v29, s[16:19], 0 offen offset:2048// 0000000067A0: E05C1800 8084681D
	s_waitcnt lgkmcnt(0)                                       // 0000000067A8: BF8CC07F
	s_barrier                                                  // 0000000067AC: BF8A0000
	ds_read_b32 v64, v10                                       // 0000000067B0: D86C0000 4000000A
	buffer_load_dwordx4 a[108:111], v29, s[16:19], 0 offen offset:3072// 0000000067B8: E05C1C00 80846C1D
	ds_read_b32 v65, v10 offset:64                             // 0000000067C0: D86C0040 4100000A
	ds_read_b32 v66, v10 offset:128                            // 0000000067C8: D86C0080 4200000A
	ds_read_b32 v67, v10 offset:192                            // 0000000067D0: D86C00C0 4300000A
	ds_read_b32 v68, v10 offset:256                            // 0000000067D8: D86C0100 4400000A
	ds_read_b32 v69, v10 offset:320                            // 0000000067E0: D86C0140 4500000A
	ds_read_b32 v70, v10 offset:384                            // 0000000067E8: D86C0180 4600000A
	ds_read_b32 v71, v10 offset:448                            // 0000000067F0: D86C01C0 4700000A
	ds_read_b32 v72, v10 offset:512                            // 0000000067F8: D86C0200 4800000A
	buffer_load_dwordx4 a[112:115], v30, s[16:19], 0 offen     // 000000006800: E05C1000 8084701E
	ds_read_b32 v73, v10 offset:576                            // 000000006808: D86C0240 4900000A
	ds_read_b32 v74, v10 offset:640                            // 000000006810: D86C0280 4A00000A
	ds_read_b32 v75, v10 offset:704                            // 000000006818: D86C02C0 4B00000A
	ds_read_b32 v76, v10 offset:768                            // 000000006820: D86C0300 4C00000A
	ds_read_b32 v77, v10 offset:832                            // 000000006828: D86C0340 4D00000A
	ds_read_b32 v78, v10 offset:896                            // 000000006830: D86C0380 4E00000A
	ds_read_b32 v79, v10 offset:960                            // 000000006838: D86C03C0 4F00000A
	buffer_load_dwordx4 a[116:119], v30, s[16:19], 0 offen offset:1024// 000000006840: E05C1400 8084741E
	buffer_load_dwordx4 a[120:123], v30, s[16:19], 0 offen offset:2048// 000000006848: E05C1800 8084781E
	s_waitcnt lgkmcnt(0)                                       // 000000006850: BF8CC07F
	v_max3_f32 v50, v64, v65, v50                              // 000000006854: D1D30032 04CA8340
	v_max3_f32 v50, v66, v67, v50                              // 00000000685C: D1D30032 04CA8742
	v_max3_f32 v50, v68, v69, v50                              // 000000006864: D1D30032 04CA8B44
	v_max3_f32 v50, v70, v71, v50                              // 00000000686C: D1D30032 04CA8F46
	v_max3_f32 v50, v72, v73, v50                              // 000000006874: D1D30032 04CA9348
	v_max3_f32 v50, v74, v75, v50                              // 00000000687C: D1D30032 04CA974A
	v_max3_f32 v50, v76, v77, v50                              // 000000006884: D1D30032 04CA9B4C
	v_max3_f32 v50, v78, v79, v50                              // 00000000688C: D1D30032 04CA9F4E
	buffer_load_dwordx4 a[124:127], v30, s[16:19], 0 offen offset:3072// 000000006894: E05C1C00 80847C1E
	v_cmp_eq_u32_e64 s[40:41], v55, v14                        // 00000000689C: D0CA0028 00021D37
	s_nop 1                                                    // 0000000068A4: BF800001
	v_max_f32_e32 v16, v50, v14                                // 0000000068A8: 16201D32
	v_sub_f32_e32 v51, v14, v16                                // 0000000068AC: 0466210E
	v_cndmask_b32_e64 v51, v51, 0, s[40:41]                    // 0000000068B0: D1000033 00A10133
	v_mov_b32_e32 v14, v16                                     // 0000000068B8: 7E1C0310
	v_mul_f32_e32 v53, s64, v16                                // 0000000068BC: 0A6A2040
	v_mul_f32_e32 v51, s64, v51                                // 0000000068C0: 0A666640
	v_exp_f32_e32 v51, v51                                     // 0000000068C4: 7E664133
	buffer_load_dwordx4 a[192:195], v200, s[20:23], 0 offen    // 0000000068C8: E05C1000 8085C0C8
	v_fma_f32 v112, v112, s64, -v53                            // 0000000068D0: D1CB0070 84D48170
	v_fma_f32 v113, v113, s64, -v53                            // 0000000068D8: D1CB0071 84D48171
	v_fma_f32 v114, v114, s64, -v53                            // 0000000068E0: D1CB0072 84D48172
	v_fma_f32 v115, v115, s64, -v53                            // 0000000068E8: D1CB0073 84D48173
	v_fma_f32 v116, v116, s64, -v53                            // 0000000068F0: D1CB0074 84D48174
	v_fma_f32 v117, v117, s64, -v53                            // 0000000068F8: D1CB0075 84D48175
	v_fma_f32 v118, v118, s64, -v53                            // 000000006900: D1CB0076 84D48176
	v_fma_f32 v119, v119, s64, -v53                            // 000000006908: D1CB0077 84D48177
	v_fma_f32 v120, v120, s64, -v53                            // 000000006910: D1CB0078 84D48178
	v_fma_f32 v121, v121, s64, -v53                            // 000000006918: D1CB0079 84D48179
	v_fma_f32 v122, v122, s64, -v53                            // 000000006920: D1CB007A 84D4817A
	v_fma_f32 v123, v123, s64, -v53                            // 000000006928: D1CB007B 84D4817B
	v_fma_f32 v124, v124, s64, -v53                            // 000000006930: D1CB007C 84D4817C
	v_fma_f32 v125, v125, s64, -v53                            // 000000006938: D1CB007D 84D4817D
	v_fma_f32 v126, v126, s64, -v53                            // 000000006940: D1CB007E 84D4817E
	v_fma_f32 v127, v127, s64, -v53                            // 000000006948: D1CB007F 84D4817F
	v_exp_f32_e32 v112, v112                                   // 000000006950: 7EE04170
	v_exp_f32_e32 v113, v113                                   // 000000006954: 7EE24171
	v_exp_f32_e32 v114, v114                                   // 000000006958: 7EE44172
	v_exp_f32_e32 v115, v115                                   // 00000000695C: 7EE64173
	v_exp_f32_e32 v116, v116                                   // 000000006960: 7EE84174
	v_exp_f32_e32 v117, v117                                   // 000000006964: 7EEA4175
	v_exp_f32_e32 v118, v118                                   // 000000006968: 7EEC4176
	v_exp_f32_e32 v119, v119                                   // 00000000696C: 7EEE4177
	v_exp_f32_e32 v120, v120                                   // 000000006970: 7EF04178
	v_exp_f32_e32 v121, v121                                   // 000000006974: 7EF24179
	v_exp_f32_e32 v122, v122                                   // 000000006978: 7EF4417A
	v_exp_f32_e32 v123, v123                                   // 00000000697C: 7EF6417B
	v_exp_f32_e32 v124, v124                                   // 000000006980: 7EF8417C
	v_exp_f32_e32 v125, v125                                   // 000000006984: 7EFA417D
	v_exp_f32_e32 v126, v126                                   // 000000006988: 7EFC417E
	v_exp_f32_e32 v127, v127                                   // 00000000698C: 7EFE417F
	buffer_load_dwordx4 a[196:199], v201, s[20:23], 0 offen    // 000000006990: E05C1000 8085C4C9
	v_mul_f32_e32 v43, v51, v43                                // 000000006998: 0A565733
	v_mov_b32_e32 v45, v112                                    // 00000000699C: 7E5A0370
	v_add_f32_e32 v45, v113, v45                               // 0000000069A0: 025A5B71
	v_add_f32_e32 v45, v114, v45                               // 0000000069A4: 025A5B72
	v_add_f32_e32 v45, v115, v45                               // 0000000069A8: 025A5B73
	v_add_f32_e32 v45, v116, v45                               // 0000000069AC: 025A5B74
	v_add_f32_e32 v45, v117, v45                               // 0000000069B0: 025A5B75
	v_add_f32_e32 v45, v118, v45                               // 0000000069B4: 025A5B76
	v_add_f32_e32 v45, v119, v45                               // 0000000069B8: 025A5B77
	v_add_f32_e32 v45, v120, v45                               // 0000000069BC: 025A5B78
	v_add_f32_e32 v45, v121, v45                               // 0000000069C0: 025A5B79
	v_add_f32_e32 v45, v122, v45                               // 0000000069C4: 025A5B7A
	v_add_f32_e32 v45, v123, v45                               // 0000000069C8: 025A5B7B
	v_add_f32_e32 v45, v124, v45                               // 0000000069CC: 025A5B7C
	v_add_f32_e32 v45, v125, v45                               // 0000000069D0: 025A5B7D
	v_add_f32_e32 v45, v126, v45                               // 0000000069D4: 025A5B7E
	v_add_f32_e32 v45, v127, v45                               // 0000000069D8: 025A5B7F
	v_add_f32_e32 v43, v45, v43                                // 0000000069DC: 0256572D
	buffer_load_dwordx4 a[200:203], v202, s[20:23], 0 offen    // 0000000069E0: E05C1000 8085C8CA
	v_cmp_u_f32_e64 s[40:41], v112, v112                       // 0000000069E8: D0480028 0002E170
	v_add3_u32 v19, v112, v22, 1                               // 0000000069F0: D1FF0013 02062D70
	v_cndmask_b32_e64 v39, v19, v21, s[40:41]                  // 0000000069F8: D1000027 00A22B13
	v_cmp_u_f32_e64 s[40:41], v113, v113                       // 000000006A00: D0480028 0002E371
	v_add3_u32 v19, v113, v22, 1                               // 000000006A08: D1FF0013 02062D71
	v_cndmask_b32_e64 v40, v19, v21, s[40:41]                  // 000000006A10: D1000028 00A22B13
	v_perm_b32 v112, v40, v39, s52                             // 000000006A18: D1ED0070 00D24F28
	v_cmp_u_f32_e64 s[40:41], v114, v114                       // 000000006A20: D0480028 0002E572
	v_add3_u32 v19, v114, v22, 1                               // 000000006A28: D1FF0013 02062D72
	v_cndmask_b32_e64 v39, v19, v21, s[40:41]                  // 000000006A30: D1000027 00A22B13
	v_cmp_u_f32_e64 s[40:41], v115, v115                       // 000000006A38: D0480028 0002E773
	v_add3_u32 v19, v115, v22, 1                               // 000000006A40: D1FF0013 02062D73
	v_cndmask_b32_e64 v40, v19, v21, s[40:41]                  // 000000006A48: D1000028 00A22B13
	v_perm_b32 v113, v40, v39, s52                             // 000000006A50: D1ED0071 00D24F28
	v_cmp_u_f32_e64 s[40:41], v116, v116                       // 000000006A58: D0480028 0002E974
	v_add3_u32 v19, v116, v22, 1                               // 000000006A60: D1FF0013 02062D74
	v_cndmask_b32_e64 v39, v19, v21, s[40:41]                  // 000000006A68: D1000027 00A22B13
	v_cmp_u_f32_e64 s[40:41], v117, v117                       // 000000006A70: D0480028 0002EB75
	v_add3_u32 v19, v117, v22, 1                               // 000000006A78: D1FF0013 02062D75
	v_cndmask_b32_e64 v40, v19, v21, s[40:41]                  // 000000006A80: D1000028 00A22B13
	v_perm_b32 v114, v40, v39, s52                             // 000000006A88: D1ED0072 00D24F28
	v_cmp_u_f32_e64 s[40:41], v118, v118                       // 000000006A90: D0480028 0002ED76
	v_add3_u32 v19, v118, v22, 1                               // 000000006A98: D1FF0013 02062D76
	v_cndmask_b32_e64 v39, v19, v21, s[40:41]                  // 000000006AA0: D1000027 00A22B13
	v_cmp_u_f32_e64 s[40:41], v119, v119                       // 000000006AA8: D0480028 0002EF77
	v_add3_u32 v19, v119, v22, 1                               // 000000006AB0: D1FF0013 02062D77
	v_cndmask_b32_e64 v40, v19, v21, s[40:41]                  // 000000006AB8: D1000028 00A22B13
	v_perm_b32 v115, v40, v39, s52                             // 000000006AC0: D1ED0073 00D24F28
	v_cmp_u_f32_e64 s[40:41], v120, v120                       // 000000006AC8: D0480028 0002F178
	v_add3_u32 v19, v120, v22, 1                               // 000000006AD0: D1FF0013 02062D78
	v_cndmask_b32_e64 v39, v19, v21, s[40:41]                  // 000000006AD8: D1000027 00A22B13
	v_cmp_u_f32_e64 s[40:41], v121, v121                       // 000000006AE0: D0480028 0002F379
	v_add3_u32 v19, v121, v22, 1                               // 000000006AE8: D1FF0013 02062D79
	v_cndmask_b32_e64 v40, v19, v21, s[40:41]                  // 000000006AF0: D1000028 00A22B13
	v_perm_b32 v116, v40, v39, s52                             // 000000006AF8: D1ED0074 00D24F28
	v_cmp_u_f32_e64 s[40:41], v122, v122                       // 000000006B00: D0480028 0002F57A
	v_add3_u32 v19, v122, v22, 1                               // 000000006B08: D1FF0013 02062D7A
	v_cndmask_b32_e64 v39, v19, v21, s[40:41]                  // 000000006B10: D1000027 00A22B13
	v_cmp_u_f32_e64 s[40:41], v123, v123                       // 000000006B18: D0480028 0002F77B
	v_add3_u32 v19, v123, v22, 1                               // 000000006B20: D1FF0013 02062D7B
	v_cndmask_b32_e64 v40, v19, v21, s[40:41]                  // 000000006B28: D1000028 00A22B13
	v_perm_b32 v117, v40, v39, s52                             // 000000006B30: D1ED0075 00D24F28
	v_cmp_u_f32_e64 s[40:41], v124, v124                       // 000000006B38: D0480028 0002F97C
	v_add3_u32 v19, v124, v22, 1                               // 000000006B40: D1FF0013 02062D7C
	v_cndmask_b32_e64 v39, v19, v21, s[40:41]                  // 000000006B48: D1000027 00A22B13
	v_cmp_u_f32_e64 s[40:41], v125, v125                       // 000000006B50: D0480028 0002FB7D
	v_add3_u32 v19, v125, v22, 1                               // 000000006B58: D1FF0013 02062D7D
	v_cndmask_b32_e64 v40, v19, v21, s[40:41]                  // 000000006B60: D1000028 00A22B13
	v_perm_b32 v118, v40, v39, s52                             // 000000006B68: D1ED0076 00D24F28
	v_cmp_u_f32_e64 s[40:41], v126, v126                       // 000000006B70: D0480028 0002FD7E
	v_add3_u32 v19, v126, v22, 1                               // 000000006B78: D1FF0013 02062D7E
	v_cndmask_b32_e64 v39, v19, v21, s[40:41]                  // 000000006B80: D1000027 00A22B13
	v_cmp_u_f32_e64 s[40:41], v127, v127                       // 000000006B88: D0480028 0002FF7F
	v_add3_u32 v19, v127, v22, 1                               // 000000006B90: D1FF0013 02062D7F
	v_cndmask_b32_e64 v40, v19, v21, s[40:41]                  // 000000006B98: D1000028 00A22B13
	v_perm_b32 v119, v40, v39, s52                             // 000000006BA0: D1ED0077 00D24F28
	buffer_load_dwordx4 a[204:207], v203, s[20:23], 0 offen    // 000000006BA8: E05C1000 8085CCCB
	buffer_load_dwordx4 a[208:211], v204, s[20:23], 0 offen    // 000000006BB0: E05C1000 8085D0CC
	ds_write_b64 v13, v[112:113] offset:4096                   // 000000006BB8: D89A1000 0000700D
	ds_write_b64 v13, v[114:115] offset:6144                   // 000000006BC0: D89A1800 0000720D
	ds_write_b64 v13, v[116:117] offset:8192                   // 000000006BC8: D89A2000 0000740D
	ds_write_b64 v13, v[118:119] offset:10240                  // 000000006BD0: D89A2800 0000760D
	buffer_load_dwordx4 a[212:215], v205, s[20:23], 0 offen    // 000000006BD8: E05C1000 8085D4CD
	s_waitcnt lgkmcnt(0)                                       // 000000006BE0: BF8CC07F
	s_barrier                                                  // 000000006BE4: BF8A0000
	ds_read_b64 v[112:113], v12 offset:4096                    // 000000006BE8: D8EC1000 7000000C
	ds_read_b64 v[114:115], v12 offset:4224                    // 000000006BF0: D8EC1080 7200000C
	ds_read_b64 v[116:117], v12 offset:5120                    // 000000006BF8: D8EC1400 7400000C
	ds_read_b64 v[118:119], v12 offset:5248                    // 000000006C00: D8EC1480 7600000C
	ds_read_b64 v[120:121], v12 offset:6144                    // 000000006C08: D8EC1800 7800000C
	ds_read_b64 v[122:123], v12 offset:6272                    // 000000006C10: D8EC1880 7A00000C
	ds_read_b64 v[124:125], v12 offset:7168                    // 000000006C18: D8EC1C00 7C00000C
	ds_read_b64 v[126:127], v12 offset:7296                    // 000000006C20: D8EC1C80 7E00000C
	ds_read_b64 v[128:129], v12 offset:8192                    // 000000006C28: D8EC2000 8000000C
	ds_read_b64 v[130:131], v12 offset:8320                    // 000000006C30: D8EC2080 8200000C
	ds_read_b64 v[132:133], v12 offset:9216                    // 000000006C38: D8EC2400 8400000C
	ds_read_b64 v[134:135], v12 offset:9344                    // 000000006C40: D8EC2480 8600000C
	ds_read_b64 v[136:137], v12 offset:10240                   // 000000006C48: D8EC2800 8800000C
	ds_read_b64 v[138:139], v12 offset:10368                   // 000000006C50: D8EC2880 8A00000C
	ds_read_b64 v[140:141], v12 offset:11264                   // 000000006C58: D8EC2C00 8C00000C
	ds_read_b64 v[142:143], v12 offset:11392                   // 000000006C60: D8EC2C80 8E00000C
	buffer_load_dwordx4 a[216:219], v206, s[20:23], 0 offen    // 000000006C68: E05C1000 8085D8CE
	buffer_load_dwordx4 a[220:223], v207, s[20:23], 0 offen    // 000000006C70: E05C1000 8085DCCF
	s_waitcnt lgkmcnt(0)                                       // 000000006C78: BF8CC07F
	v_mul_f32_e32 v176, v51, v176                              // 000000006C7C: 0B616133
	v_mul_f32_e32 v177, v51, v177                              // 000000006C80: 0B636333
	v_mul_f32_e32 v178, v51, v178                              // 000000006C84: 0B656533
	v_mul_f32_e32 v179, v51, v179                              // 000000006C88: 0B676733
	v_mul_f32_e32 v180, v51, v180                              // 000000006C8C: 0B696933
	v_mul_f32_e32 v181, v51, v181                              // 000000006C90: 0B6B6B33
	v_mul_f32_e32 v182, v51, v182                              // 000000006C94: 0B6D6D33
	v_mul_f32_e32 v183, v51, v183                              // 000000006C98: 0B6F6F33
	s_waitcnt vmcnt(24)                                        // 000000006C9C: BF8C4F78
	v_mfma_f32_16x16x16_bf16 v[176:179], a[128:129], v[112:113], v[176:179]// 000000006CA0: D3E100B0 0EC2E180
	v_mfma_f32_16x16x16_bf16 v[176:179], a[130:131], v[114:115], v[176:179]// 000000006CA8: D3E100B0 0EC2E582
	buffer_load_dwordx4 a[224:227], v200, s[20:23], 0 offen offset:1024// 000000006CB0: E05C1400 8085E0C8
	v_mfma_f32_16x16x16_bf16 v[176:179], a[132:133], v[116:117], v[176:179]// 000000006CB8: D3E100B0 0EC2E984
	v_mfma_f32_16x16x16_bf16 v[176:179], a[134:135], v[118:119], v[176:179]// 000000006CC0: D3E100B0 0EC2ED86
	v_mfma_f32_16x16x16_bf16 v[176:179], a[136:137], v[120:121], v[176:179]// 000000006CC8: D3E100B0 0EC2F188
	v_mfma_f32_16x16x16_bf16 v[176:179], a[138:139], v[122:123], v[176:179]// 000000006CD0: D3E100B0 0EC2F58A
	buffer_load_dwordx4 a[228:231], v201, s[20:23], 0 offen offset:1024// 000000006CD8: E05C1400 8085E4C9
	v_mfma_f32_16x16x16_bf16 v[176:179], a[140:141], v[124:125], v[176:179]// 000000006CE0: D3E100B0 0EC2F98C
	v_mfma_f32_16x16x16_bf16 v[176:179], a[142:143], v[126:127], v[176:179]// 000000006CE8: D3E100B0 0EC2FD8E
	v_mfma_f32_16x16x16_bf16 v[176:179], a[144:145], v[128:129], v[176:179]// 000000006CF0: D3E100B0 0EC30190
	v_mfma_f32_16x16x16_bf16 v[176:179], a[146:147], v[130:131], v[176:179]// 000000006CF8: D3E100B0 0EC30592
	buffer_load_dwordx4 a[232:235], v202, s[20:23], 0 offen offset:1024// 000000006D00: E05C1400 8085E8CA
	v_mfma_f32_16x16x16_bf16 v[176:179], a[148:149], v[132:133], v[176:179]// 000000006D08: D3E100B0 0EC30994
	v_mfma_f32_16x16x16_bf16 v[176:179], a[150:151], v[134:135], v[176:179]// 000000006D10: D3E100B0 0EC30D96
	v_mfma_f32_16x16x16_bf16 v[176:179], a[152:153], v[136:137], v[176:179]// 000000006D18: D3E100B0 0EC31198
	v_mfma_f32_16x16x16_bf16 v[176:179], a[154:155], v[138:139], v[176:179]// 000000006D20: D3E100B0 0EC3159A
	buffer_load_dwordx4 a[236:239], v203, s[20:23], 0 offen offset:1024// 000000006D28: E05C1400 8085ECCB
	v_mfma_f32_16x16x16_bf16 v[176:179], a[156:157], v[140:141], v[176:179]// 000000006D30: D3E100B0 0EC3199C
	v_mfma_f32_16x16x16_bf16 v[176:179], a[158:159], v[142:143], v[176:179]// 000000006D38: D3E100B0 0EC31D9E
	v_mfma_f32_16x16x16_bf16 v[180:183], a[160:161], v[112:113], v[180:183]// 000000006D40: D3E100B4 0ED2E1A0
	v_mfma_f32_16x16x16_bf16 v[180:183], a[162:163], v[114:115], v[180:183]// 000000006D48: D3E100B4 0ED2E5A2
	buffer_load_dwordx4 a[240:243], v204, s[20:23], 0 offen offset:1024// 000000006D50: E05C1400 8085F0CC
	v_mfma_f32_16x16x16_bf16 v[180:183], a[164:165], v[116:117], v[180:183]// 000000006D58: D3E100B4 0ED2E9A4
	v_mfma_f32_16x16x16_bf16 v[180:183], a[166:167], v[118:119], v[180:183]// 000000006D60: D3E100B4 0ED2EDA6
	v_mfma_f32_16x16x16_bf16 v[180:183], a[168:169], v[120:121], v[180:183]// 000000006D68: D3E100B4 0ED2F1A8
	v_mfma_f32_16x16x16_bf16 v[180:183], a[170:171], v[122:123], v[180:183]// 000000006D70: D3E100B4 0ED2F5AA
	buffer_load_dwordx4 a[244:247], v205, s[20:23], 0 offen offset:1024// 000000006D78: E05C1400 8085F4CD
	v_mfma_f32_16x16x16_bf16 v[180:183], a[172:173], v[124:125], v[180:183]// 000000006D80: D3E100B4 0ED2F9AC
	v_mfma_f32_16x16x16_bf16 v[180:183], a[174:175], v[126:127], v[180:183]// 000000006D88: D3E100B4 0ED2FDAE
	v_mfma_f32_16x16x16_bf16 v[180:183], a[176:177], v[128:129], v[180:183]// 000000006D90: D3E100B4 0ED301B0
	v_mfma_f32_16x16x16_bf16 v[180:183], a[178:179], v[130:131], v[180:183]// 000000006D98: D3E100B4 0ED305B2
	buffer_load_dwordx4 a[248:251], v206, s[20:23], 0 offen offset:1024// 000000006DA0: E05C1400 8085F8CE
	v_mfma_f32_16x16x16_bf16 v[180:183], a[180:181], v[132:133], v[180:183]// 000000006DA8: D3E100B4 0ED309B4
	v_mfma_f32_16x16x16_bf16 v[180:183], a[182:183], v[134:135], v[180:183]// 000000006DB0: D3E100B4 0ED30DB6
	v_mfma_f32_16x16x16_bf16 v[180:183], a[184:185], v[136:137], v[180:183]// 000000006DB8: D3E100B4 0ED311B8
	v_mfma_f32_16x16x16_bf16 v[180:183], a[186:187], v[138:139], v[180:183]// 000000006DC0: D3E100B4 0ED315BA
	buffer_load_dwordx4 a[252:255], v207, s[20:23], 0 offen offset:1024// 000000006DC8: E05C1400 8085FCCF
	v_mfma_f32_16x16x16_bf16 v[180:183], a[188:189], v[140:141], v[180:183]// 000000006DD0: D3E100B4 0ED319BC
	v_mfma_f32_16x16x16_bf16 v[180:183], a[190:191], v[142:143], v[180:183]// 000000006DD8: D3E100B4 0ED31DBE
	s_lshr_b32 s60, s70, 4                                     // 000000006DE0: 8F3C8446
	s_add_u32 s60, 48, s60                                     // 000000006DE4: 803C3CB0
	s_cmp_ge_u32 s60, s73                                      // 000000006DE8: BF09493C
	s_cselect_b32 s56, 0, s56                                  // 000000006DEC: 85383880
	v_mul_u32_u24_dpp v39, v17, v54 row_newbcast:0 row_mask:0xf bank_mask:0xf// 000000006DF0: 104E6CFA FF015011
	v_mul_u32_u24_dpp v40, v17, v54 row_newbcast:4 row_mask:0xf bank_mask:0xf// 000000006DF8: 10506CFA FF015411
	v_mul_u32_u24_dpp v41, v17, v54 row_newbcast:8 row_mask:0xf bank_mask:0xf// 000000006E00: 10526CFA FF015811
	v_mul_u32_u24_dpp v42, v17, v54 row_newbcast:12 row_mask:0xf bank_mask:0xf// 000000006E08: 10546CFA FF015C11
	v_add_u32_e32 v23, v39, v6                                 // 000000006E10: 682E0D27
	v_add_u32_e32 v24, v40, v6                                 // 000000006E14: 68300D28
	v_add_u32_e32 v25, v41, v6                                 // 000000006E18: 68320D29
	v_add_u32_e32 v26, v42, v6                                 // 000000006E1C: 68340D2A
	v_mul_u32_u24_dpp v39, v17, v54 row_newbcast:1 row_mask:0xf bank_mask:0xf// 000000006E20: 104E6CFA FF015111
	v_mul_u32_u24_dpp v40, v17, v54 row_newbcast:2 row_mask:0xf bank_mask:0xf// 000000006E28: 10506CFA FF015211
	v_mul_u32_u24_dpp v41, v17, v54 row_newbcast:5 row_mask:0xf bank_mask:0xf// 000000006E30: 10526CFA FF015511
	v_mul_u32_u24_dpp v42, v17, v54 row_newbcast:6 row_mask:0xf bank_mask:0xf// 000000006E38: 10546CFA FF015611
	v_add_u32_e32 v192, v39, v7                                // 000000006E40: 69800F27
	v_add_u32_e32 v193, v40, v7                                // 000000006E44: 69820F28
	v_add_u32_e32 v194, v41, v7                                // 000000006E48: 69840F29
	v_add_u32_e32 v195, v42, v7                                // 000000006E4C: 69860F2A
	v_mul_u32_u24_dpp v39, v17, v54 row_newbcast:9 row_mask:0xf bank_mask:0xf// 000000006E50: 104E6CFA FF015911
	v_mul_u32_u24_dpp v40, v17, v54 row_newbcast:10 row_mask:0xf bank_mask:0xf// 000000006E58: 10506CFA FF015A11
	v_mul_u32_u24_dpp v41, v17, v54 row_newbcast:13 row_mask:0xf bank_mask:0xf// 000000006E60: 10526CFA FF015D11
	v_mul_u32_u24_dpp v42, v17, v54 row_newbcast:7 row_mask:0xf bank_mask:0xf// 000000006E68: 10546CFA FF015711
	v_add_u32_e32 v196, v39, v7                                // 000000006E70: 69880F27
	v_add_u32_e32 v197, v40, v7                                // 000000006E74: 698A0F28
	v_add_u32_e32 v198, v41, v7                                // 000000006E78: 698C0F29
	v_add_u32_e32 v199, v42, v7                                // 000000006E7C: 698E0F2A
	v_add_u32_e32 v1, s56, v1                                  // 000000006E80: 68020238
	s_addk_i32 s70, 0x100                                      // 000000006E84: B7460100
	s_cmp_lt_i32 s70, s71                                      // 000000006E88: BF044746
	s_cbranch_scc0 label_154D                                  // 000000006E8C: BF840228
	s_waitcnt vmcnt(16) lgkmcnt(0)                             // 000000006E90: BF8C4070
	v_mfma_f32_16x16x16_bf16 v[112:115], a[64:65], v[80:81], 0 // 000000006E94: D3E10070 0A02A140
	v_mfma_f32_16x16x16_bf16 v[112:115], a[66:67], v[82:83], v[112:115]// 000000006E9C: D3E10070 0DC2A542
	buffer_load_dwordx4 a[0:3], v23, s[16:19], 0 offen         // 000000006EA4: E05C1000 80840017
	v_mfma_f32_16x16x16_bf16 v[112:115], a[68:69], v[84:85], v[112:115]// 000000006EAC: D3E10070 0DC2A944
	v_mfma_f32_16x16x16_bf16 v[112:115], a[70:71], v[86:87], v[112:115]// 000000006EB4: D3E10070 0DC2AD46
	buffer_load_dword v18, v1, s[24:27], 0 offen               // 000000006EBC: E0501000 80061201
	v_mfma_f32_16x16x16_bf16 v[112:115], a[72:73], v[88:89], v[112:115]// 000000006EC4: D3E10070 0DC2B148
	v_mfma_f32_16x16x16_bf16 v[112:115], a[74:75], v[90:91], v[112:115]// 000000006ECC: D3E10070 0DC2B54A
	buffer_load_dwordx4 a[4:7], v23, s[16:19], 0 offen offset:1024// 000000006ED4: E05C1400 80840417
	v_mfma_f32_16x16x16_bf16 v[112:115], a[76:77], v[92:93], v[112:115]// 000000006EDC: D3E10070 0DC2B94C
	v_mfma_f32_16x16x16_bf16 v[112:115], a[78:79], v[94:95], v[112:115]// 000000006EE4: D3E10070 0DC2BD4E
	v_mfma_f32_16x16x16_bf16 v[116:119], a[80:81], v[80:81], 0 // 000000006EEC: D3E10074 0A02A150
	v_mfma_f32_16x16x16_bf16 v[116:119], a[82:83], v[82:83], v[116:119]// 000000006EF4: D3E10074 0DD2A552
	buffer_load_dwordx4 a[8:11], v23, s[16:19], 0 offen offset:2048// 000000006EFC: E05C1800 80840817
	v_mfma_f32_16x16x16_bf16 v[116:119], a[84:85], v[84:85], v[116:119]// 000000006F04: D3E10074 0DD2A954
	v_mfma_f32_16x16x16_bf16 v[116:119], a[86:87], v[86:87], v[116:119]// 000000006F0C: D3E10074 0DD2AD56
	v_mfma_f32_16x16x16_bf16 v[116:119], a[88:89], v[88:89], v[116:119]// 000000006F14: D3E10074 0DD2B158
	v_mfma_f32_16x16x16_bf16 v[116:119], a[90:91], v[90:91], v[116:119]// 000000006F1C: D3E10074 0DD2B55A
	buffer_load_dwordx4 a[12:15], v23, s[16:19], 0 offen offset:3072// 000000006F24: E05C1C00 80840C17
	v_mfma_f32_16x16x16_bf16 v[116:119], a[92:93], v[92:93], v[116:119]// 000000006F2C: D3E10074 0DD2B95C
	v_mfma_f32_16x16x16_bf16 v[116:119], a[94:95], v[94:95], v[116:119]// 000000006F34: D3E10074 0DD2BD5E
	v_mfma_f32_16x16x16_bf16 v[120:123], a[96:97], v[80:81], 0 // 000000006F3C: D3E10078 0A02A160
	v_mfma_f32_16x16x16_bf16 v[120:123], a[98:99], v[82:83], v[120:123]// 000000006F44: D3E10078 0DE2A562
	buffer_load_dwordx4 a[16:19], v24, s[16:19], 0 offen       // 000000006F4C: E05C1000 80841018
	v_mfma_f32_16x16x16_bf16 v[120:123], a[100:101], v[84:85], v[120:123]// 000000006F54: D3E10078 0DE2A964
	v_mfma_f32_16x16x16_bf16 v[120:123], a[102:103], v[86:87], v[120:123]// 000000006F5C: D3E10078 0DE2AD66
	v_mfma_f32_16x16x16_bf16 v[120:123], a[104:105], v[88:89], v[120:123]// 000000006F64: D3E10078 0DE2B168
	v_mfma_f32_16x16x16_bf16 v[120:123], a[106:107], v[90:91], v[120:123]// 000000006F6C: D3E10078 0DE2B56A
	buffer_load_dwordx4 a[20:23], v24, s[16:19], 0 offen offset:1024// 000000006F74: E05C1400 80841418
	v_mfma_f32_16x16x16_bf16 v[120:123], a[108:109], v[92:93], v[120:123]// 000000006F7C: D3E10078 0DE2B96C
	v_mfma_f32_16x16x16_bf16 v[120:123], a[110:111], v[94:95], v[120:123]// 000000006F84: D3E10078 0DE2BD6E
	v_mfma_f32_16x16x16_bf16 v[124:127], a[112:113], v[80:81], 0// 000000006F8C: D3E1007C 0A02A170
	v_mfma_f32_16x16x16_bf16 v[124:127], a[114:115], v[82:83], v[124:127]// 000000006F94: D3E1007C 0DF2A572
	buffer_load_dwordx4 a[24:27], v24, s[16:19], 0 offen offset:2048// 000000006F9C: E05C1800 80841818
	v_mfma_f32_16x16x16_bf16 v[124:127], a[116:117], v[84:85], v[124:127]// 000000006FA4: D3E1007C 0DF2A974
	v_mfma_f32_16x16x16_bf16 v[124:127], a[118:119], v[86:87], v[124:127]// 000000006FAC: D3E1007C 0DF2AD76
	v_mfma_f32_16x16x16_bf16 v[124:127], a[120:121], v[88:89], v[124:127]// 000000006FB4: D3E1007C 0DF2B178
	v_mfma_f32_16x16x16_bf16 v[124:127], a[122:123], v[90:91], v[124:127]// 000000006FBC: D3E1007C 0DF2B57A
	buffer_load_dwordx4 a[28:31], v24, s[16:19], 0 offen offset:3072// 000000006FC4: E05C1C00 80841C18
	v_mfma_f32_16x16x16_bf16 v[124:127], a[124:125], v[92:93], v[124:127]// 000000006FCC: D3E1007C 0DF2B97C
	v_mfma_f32_16x16x16_bf16 v[124:127], a[126:127], v[94:95], v[124:127]// 000000006FD4: D3E1007C 0DF2BD7E
	buffer_load_dwordx4 a[32:35], v25, s[16:19], 0 offen       // 000000006FDC: E05C1000 80842019
	s_nop 8                                                    // 000000006FE4: BF800008
	buffer_load_dwordx4 a[36:39], v25, s[16:19], 0 offen offset:1024// 000000006FE8: E05C1400 80842419
	v_mov_b32_e32 v50, v112                                    // 000000006FF0: 7E640370
	v_max3_f32 v50, v112, v113, v50                            // 000000006FF4: D1D30032 04CAE370
	v_max3_f32 v50, v114, v115, v50                            // 000000006FFC: D1D30032 04CAE772
	v_max3_f32 v50, v116, v117, v50                            // 000000007004: D1D30032 04CAEB74
	v_max3_f32 v50, v118, v119, v50                            // 00000000700C: D1D30032 04CAEF76
	v_max3_f32 v50, v120, v121, v50                            // 000000007014: D1D30032 04CAF378
	v_max3_f32 v50, v122, v123, v50                            // 00000000701C: D1D30032 04CAF77A
	v_max3_f32 v50, v124, v125, v50                            // 000000007024: D1D30032 04CAFB7C
	v_max3_f32 v50, v126, v127, v50                            // 00000000702C: D1D30032 04CAFF7E
	ds_write_b32 v11, v50                                      // 000000007034: D81A0000 0000320B
	buffer_load_dwordx4 a[40:43], v25, s[16:19], 0 offen offset:2048// 00000000703C: E05C1800 80842819
	s_waitcnt lgkmcnt(0)                                       // 000000007044: BF8CC07F
	s_barrier                                                  // 000000007048: BF8A0000
	ds_read_b32 v64, v10                                       // 00000000704C: D86C0000 4000000A
	buffer_load_dwordx4 a[44:47], v25, s[16:19], 0 offen offset:3072// 000000007054: E05C1C00 80842C19
	ds_read_b32 v65, v10 offset:64                             // 00000000705C: D86C0040 4100000A
	ds_read_b32 v66, v10 offset:128                            // 000000007064: D86C0080 4200000A
	ds_read_b32 v67, v10 offset:192                            // 00000000706C: D86C00C0 4300000A
	ds_read_b32 v68, v10 offset:256                            // 000000007074: D86C0100 4400000A
	ds_read_b32 v69, v10 offset:320                            // 00000000707C: D86C0140 4500000A
	ds_read_b32 v70, v10 offset:384                            // 000000007084: D86C0180 4600000A
	ds_read_b32 v71, v10 offset:448                            // 00000000708C: D86C01C0 4700000A
	ds_read_b32 v72, v10 offset:512                            // 000000007094: D86C0200 4800000A
	buffer_load_dwordx4 a[48:51], v26, s[16:19], 0 offen       // 00000000709C: E05C1000 8084301A
	ds_read_b32 v73, v10 offset:576                            // 0000000070A4: D86C0240 4900000A
	ds_read_b32 v74, v10 offset:640                            // 0000000070AC: D86C0280 4A00000A
	ds_read_b32 v75, v10 offset:704                            // 0000000070B4: D86C02C0 4B00000A
	ds_read_b32 v76, v10 offset:768                            // 0000000070BC: D86C0300 4C00000A
	ds_read_b32 v77, v10 offset:832                            // 0000000070C4: D86C0340 4D00000A
	ds_read_b32 v78, v10 offset:896                            // 0000000070CC: D86C0380 4E00000A
	ds_read_b32 v79, v10 offset:960                            // 0000000070D4: D86C03C0 4F00000A
	buffer_load_dwordx4 a[52:55], v26, s[16:19], 0 offen offset:1024// 0000000070DC: E05C1400 8084341A
	buffer_load_dwordx4 a[56:59], v26, s[16:19], 0 offen offset:2048// 0000000070E4: E05C1800 8084381A
	s_waitcnt lgkmcnt(0)                                       // 0000000070EC: BF8CC07F
	v_max3_f32 v50, v64, v65, v50                              // 0000000070F0: D1D30032 04CA8340
	v_max3_f32 v50, v66, v67, v50                              // 0000000070F8: D1D30032 04CA8742
	v_max3_f32 v50, v68, v69, v50                              // 000000007100: D1D30032 04CA8B44
	v_max3_f32 v50, v70, v71, v50                              // 000000007108: D1D30032 04CA8F46
	v_max3_f32 v50, v72, v73, v50                              // 000000007110: D1D30032 04CA9348
	v_max3_f32 v50, v74, v75, v50                              // 000000007118: D1D30032 04CA974A
	v_max3_f32 v50, v76, v77, v50                              // 000000007120: D1D30032 04CA9B4C
	v_max3_f32 v50, v78, v79, v50                              // 000000007128: D1D30032 04CA9F4E
	buffer_load_dwordx4 a[60:63], v26, s[16:19], 0 offen offset:3072// 000000007130: E05C1C00 80843C1A
	v_cmp_eq_u32_e64 s[40:41], v55, v14                        // 000000007138: D0CA0028 00021D37
	s_nop 1                                                    // 000000007140: BF800001
	v_max_f32_e32 v16, v50, v14                                // 000000007144: 16201D32
	v_sub_f32_e32 v51, v14, v16                                // 000000007148: 0466210E
	v_cndmask_b32_e64 v51, v51, 0, s[40:41]                    // 00000000714C: D1000033 00A10133
	v_mov_b32_e32 v14, v16                                     // 000000007154: 7E1C0310
	v_mul_f32_e32 v53, s64, v16                                // 000000007158: 0A6A2040
	v_mul_f32_e32 v51, s64, v51                                // 00000000715C: 0A666640
	v_exp_f32_e32 v51, v51                                     // 000000007160: 7E664133
	buffer_load_dwordx4 a[128:131], v192, s[20:23], 0 offen    // 000000007164: E05C1000 808580C0
	v_fma_f32 v112, v112, s64, -v53                            // 00000000716C: D1CB0070 84D48170
	v_fma_f32 v113, v113, s64, -v53                            // 000000007174: D1CB0071 84D48171
	v_fma_f32 v114, v114, s64, -v53                            // 00000000717C: D1CB0072 84D48172
	v_fma_f32 v115, v115, s64, -v53                            // 000000007184: D1CB0073 84D48173
	v_fma_f32 v116, v116, s64, -v53                            // 00000000718C: D1CB0074 84D48174
	v_fma_f32 v117, v117, s64, -v53                            // 000000007194: D1CB0075 84D48175
	v_fma_f32 v118, v118, s64, -v53                            // 00000000719C: D1CB0076 84D48176
	v_fma_f32 v119, v119, s64, -v53                            // 0000000071A4: D1CB0077 84D48177
	v_fma_f32 v120, v120, s64, -v53                            // 0000000071AC: D1CB0078 84D48178
	v_fma_f32 v121, v121, s64, -v53                            // 0000000071B4: D1CB0079 84D48179
	v_fma_f32 v122, v122, s64, -v53                            // 0000000071BC: D1CB007A 84D4817A
	v_fma_f32 v123, v123, s64, -v53                            // 0000000071C4: D1CB007B 84D4817B
	v_fma_f32 v124, v124, s64, -v53                            // 0000000071CC: D1CB007C 84D4817C
	v_fma_f32 v125, v125, s64, -v53                            // 0000000071D4: D1CB007D 84D4817D
	v_fma_f32 v126, v126, s64, -v53                            // 0000000071DC: D1CB007E 84D4817E
	v_fma_f32 v127, v127, s64, -v53                            // 0000000071E4: D1CB007F 84D4817F
	v_exp_f32_e32 v112, v112                                   // 0000000071EC: 7EE04170
	v_exp_f32_e32 v113, v113                                   // 0000000071F0: 7EE24171
	v_exp_f32_e32 v114, v114                                   // 0000000071F4: 7EE44172
	v_exp_f32_e32 v115, v115                                   // 0000000071F8: 7EE64173
	v_exp_f32_e32 v116, v116                                   // 0000000071FC: 7EE84174
	v_exp_f32_e32 v117, v117                                   // 000000007200: 7EEA4175
	v_exp_f32_e32 v118, v118                                   // 000000007204: 7EEC4176
	v_exp_f32_e32 v119, v119                                   // 000000007208: 7EEE4177
	v_exp_f32_e32 v120, v120                                   // 00000000720C: 7EF04178
	v_exp_f32_e32 v121, v121                                   // 000000007210: 7EF24179
	v_exp_f32_e32 v122, v122                                   // 000000007214: 7EF4417A
	v_exp_f32_e32 v123, v123                                   // 000000007218: 7EF6417B
	v_exp_f32_e32 v124, v124                                   // 00000000721C: 7EF8417C
	v_exp_f32_e32 v125, v125                                   // 000000007220: 7EFA417D
	v_exp_f32_e32 v126, v126                                   // 000000007224: 7EFC417E
	v_exp_f32_e32 v127, v127                                   // 000000007228: 7EFE417F
	buffer_load_dwordx4 a[132:135], v193, s[20:23], 0 offen    // 00000000722C: E05C1000 808584C1
	v_mul_f32_e32 v43, v51, v43                                // 000000007234: 0A565733
	v_mov_b32_e32 v45, v112                                    // 000000007238: 7E5A0370
	v_add_f32_e32 v45, v113, v45                               // 00000000723C: 025A5B71
	v_add_f32_e32 v45, v114, v45                               // 000000007240: 025A5B72
	v_add_f32_e32 v45, v115, v45                               // 000000007244: 025A5B73
	v_add_f32_e32 v45, v116, v45                               // 000000007248: 025A5B74
	v_add_f32_e32 v45, v117, v45                               // 00000000724C: 025A5B75
	v_add_f32_e32 v45, v118, v45                               // 000000007250: 025A5B76
	v_add_f32_e32 v45, v119, v45                               // 000000007254: 025A5B77
	v_add_f32_e32 v45, v120, v45                               // 000000007258: 025A5B78
	v_add_f32_e32 v45, v121, v45                               // 00000000725C: 025A5B79
	v_add_f32_e32 v45, v122, v45                               // 000000007260: 025A5B7A
	v_add_f32_e32 v45, v123, v45                               // 000000007264: 025A5B7B
	v_add_f32_e32 v45, v124, v45                               // 000000007268: 025A5B7C
	v_add_f32_e32 v45, v125, v45                               // 00000000726C: 025A5B7D
	v_add_f32_e32 v45, v126, v45                               // 000000007270: 025A5B7E
	v_add_f32_e32 v45, v127, v45                               // 000000007274: 025A5B7F
	v_add_f32_e32 v43, v45, v43                                // 000000007278: 0256572D
	buffer_load_dwordx4 a[136:139], v194, s[20:23], 0 offen    // 00000000727C: E05C1000 808588C2
	v_cmp_u_f32_e64 s[40:41], v112, v112                       // 000000007284: D0480028 0002E170
	v_add3_u32 v19, v112, v22, 1                               // 00000000728C: D1FF0013 02062D70
	v_cndmask_b32_e64 v39, v19, v21, s[40:41]                  // 000000007294: D1000027 00A22B13
	v_cmp_u_f32_e64 s[40:41], v113, v113                       // 00000000729C: D0480028 0002E371
	v_add3_u32 v19, v113, v22, 1                               // 0000000072A4: D1FF0013 02062D71
	v_cndmask_b32_e64 v40, v19, v21, s[40:41]                  // 0000000072AC: D1000028 00A22B13
	v_perm_b32 v112, v40, v39, s52                             // 0000000072B4: D1ED0070 00D24F28
	v_cmp_u_f32_e64 s[40:41], v114, v114                       // 0000000072BC: D0480028 0002E572
	v_add3_u32 v19, v114, v22, 1                               // 0000000072C4: D1FF0013 02062D72
	v_cndmask_b32_e64 v39, v19, v21, s[40:41]                  // 0000000072CC: D1000027 00A22B13
	v_cmp_u_f32_e64 s[40:41], v115, v115                       // 0000000072D4: D0480028 0002E773
	v_add3_u32 v19, v115, v22, 1                               // 0000000072DC: D1FF0013 02062D73
	v_cndmask_b32_e64 v40, v19, v21, s[40:41]                  // 0000000072E4: D1000028 00A22B13
	v_perm_b32 v113, v40, v39, s52                             // 0000000072EC: D1ED0071 00D24F28
	v_cmp_u_f32_e64 s[40:41], v116, v116                       // 0000000072F4: D0480028 0002E974
	v_add3_u32 v19, v116, v22, 1                               // 0000000072FC: D1FF0013 02062D74
	v_cndmask_b32_e64 v39, v19, v21, s[40:41]                  // 000000007304: D1000027 00A22B13
	v_cmp_u_f32_e64 s[40:41], v117, v117                       // 00000000730C: D0480028 0002EB75
	v_add3_u32 v19, v117, v22, 1                               // 000000007314: D1FF0013 02062D75
	v_cndmask_b32_e64 v40, v19, v21, s[40:41]                  // 00000000731C: D1000028 00A22B13
	v_perm_b32 v114, v40, v39, s52                             // 000000007324: D1ED0072 00D24F28
	v_cmp_u_f32_e64 s[40:41], v118, v118                       // 00000000732C: D0480028 0002ED76
	v_add3_u32 v19, v118, v22, 1                               // 000000007334: D1FF0013 02062D76
	v_cndmask_b32_e64 v39, v19, v21, s[40:41]                  // 00000000733C: D1000027 00A22B13
	v_cmp_u_f32_e64 s[40:41], v119, v119                       // 000000007344: D0480028 0002EF77
	v_add3_u32 v19, v119, v22, 1                               // 00000000734C: D1FF0013 02062D77
	v_cndmask_b32_e64 v40, v19, v21, s[40:41]                  // 000000007354: D1000028 00A22B13
	v_perm_b32 v115, v40, v39, s52                             // 00000000735C: D1ED0073 00D24F28
	v_cmp_u_f32_e64 s[40:41], v120, v120                       // 000000007364: D0480028 0002F178
	v_add3_u32 v19, v120, v22, 1                               // 00000000736C: D1FF0013 02062D78
	v_cndmask_b32_e64 v39, v19, v21, s[40:41]                  // 000000007374: D1000027 00A22B13
	v_cmp_u_f32_e64 s[40:41], v121, v121                       // 00000000737C: D0480028 0002F379
	v_add3_u32 v19, v121, v22, 1                               // 000000007384: D1FF0013 02062D79
	v_cndmask_b32_e64 v40, v19, v21, s[40:41]                  // 00000000738C: D1000028 00A22B13
	v_perm_b32 v116, v40, v39, s52                             // 000000007394: D1ED0074 00D24F28
	v_cmp_u_f32_e64 s[40:41], v122, v122                       // 00000000739C: D0480028 0002F57A
	v_add3_u32 v19, v122, v22, 1                               // 0000000073A4: D1FF0013 02062D7A
	v_cndmask_b32_e64 v39, v19, v21, s[40:41]                  // 0000000073AC: D1000027 00A22B13
	v_cmp_u_f32_e64 s[40:41], v123, v123                       // 0000000073B4: D0480028 0002F77B
	v_add3_u32 v19, v123, v22, 1                               // 0000000073BC: D1FF0013 02062D7B
	v_cndmask_b32_e64 v40, v19, v21, s[40:41]                  // 0000000073C4: D1000028 00A22B13
	v_perm_b32 v117, v40, v39, s52                             // 0000000073CC: D1ED0075 00D24F28
	v_cmp_u_f32_e64 s[40:41], v124, v124                       // 0000000073D4: D0480028 0002F97C
	v_add3_u32 v19, v124, v22, 1                               // 0000000073DC: D1FF0013 02062D7C
	v_cndmask_b32_e64 v39, v19, v21, s[40:41]                  // 0000000073E4: D1000027 00A22B13
	v_cmp_u_f32_e64 s[40:41], v125, v125                       // 0000000073EC: D0480028 0002FB7D
	v_add3_u32 v19, v125, v22, 1                               // 0000000073F4: D1FF0013 02062D7D
	v_cndmask_b32_e64 v40, v19, v21, s[40:41]                  // 0000000073FC: D1000028 00A22B13
	v_perm_b32 v118, v40, v39, s52                             // 000000007404: D1ED0076 00D24F28
	v_cmp_u_f32_e64 s[40:41], v126, v126                       // 00000000740C: D0480028 0002FD7E
	v_add3_u32 v19, v126, v22, 1                               // 000000007414: D1FF0013 02062D7E
	v_cndmask_b32_e64 v39, v19, v21, s[40:41]                  // 00000000741C: D1000027 00A22B13
	v_cmp_u_f32_e64 s[40:41], v127, v127                       // 000000007424: D0480028 0002FF7F
	v_add3_u32 v19, v127, v22, 1                               // 00000000742C: D1FF0013 02062D7F
	v_cndmask_b32_e64 v40, v19, v21, s[40:41]                  // 000000007434: D1000028 00A22B13
	v_perm_b32 v119, v40, v39, s52                             // 00000000743C: D1ED0077 00D24F28
	buffer_load_dwordx4 a[140:143], v195, s[20:23], 0 offen    // 000000007444: E05C1000 80858CC3
	buffer_load_dwordx4 a[144:147], v196, s[20:23], 0 offen    // 00000000744C: E05C1000 808590C4
	ds_write_b64 v13, v[112:113] offset:4096                   // 000000007454: D89A1000 0000700D
	ds_write_b64 v13, v[114:115] offset:6144                   // 00000000745C: D89A1800 0000720D
	ds_write_b64 v13, v[116:117] offset:8192                   // 000000007464: D89A2000 0000740D
	ds_write_b64 v13, v[118:119] offset:10240                  // 00000000746C: D89A2800 0000760D
	buffer_load_dwordx4 a[148:151], v197, s[20:23], 0 offen    // 000000007474: E05C1000 808594C5
	s_waitcnt lgkmcnt(0)                                       // 00000000747C: BF8CC07F
	s_barrier                                                  // 000000007480: BF8A0000
	ds_read_b64 v[112:113], v12 offset:4096                    // 000000007484: D8EC1000 7000000C
	ds_read_b64 v[114:115], v12 offset:4224                    // 00000000748C: D8EC1080 7200000C
	ds_read_b64 v[116:117], v12 offset:5120                    // 000000007494: D8EC1400 7400000C
	ds_read_b64 v[118:119], v12 offset:5248                    // 00000000749C: D8EC1480 7600000C
	ds_read_b64 v[120:121], v12 offset:6144                    // 0000000074A4: D8EC1800 7800000C
	ds_read_b64 v[122:123], v12 offset:6272                    // 0000000074AC: D8EC1880 7A00000C
	ds_read_b64 v[124:125], v12 offset:7168                    // 0000000074B4: D8EC1C00 7C00000C
	ds_read_b64 v[126:127], v12 offset:7296                    // 0000000074BC: D8EC1C80 7E00000C
	ds_read_b64 v[128:129], v12 offset:8192                    // 0000000074C4: D8EC2000 8000000C
	ds_read_b64 v[130:131], v12 offset:8320                    // 0000000074CC: D8EC2080 8200000C
	ds_read_b64 v[132:133], v12 offset:9216                    // 0000000074D4: D8EC2400 8400000C
	ds_read_b64 v[134:135], v12 offset:9344                    // 0000000074DC: D8EC2480 8600000C
	ds_read_b64 v[136:137], v12 offset:10240                   // 0000000074E4: D8EC2800 8800000C
	ds_read_b64 v[138:139], v12 offset:10368                   // 0000000074EC: D8EC2880 8A00000C
	ds_read_b64 v[140:141], v12 offset:11264                   // 0000000074F4: D8EC2C00 8C00000C
	ds_read_b64 v[142:143], v12 offset:11392                   // 0000000074FC: D8EC2C80 8E00000C
	buffer_load_dwordx4 a[152:155], v198, s[20:23], 0 offen    // 000000007504: E05C1000 808598C6
	buffer_load_dwordx4 a[156:159], v199, s[20:23], 0 offen    // 00000000750C: E05C1000 80859CC7
	s_waitcnt lgkmcnt(0)                                       // 000000007514: BF8CC07F
	v_mul_f32_e32 v176, v51, v176                              // 000000007518: 0B616133
	v_mul_f32_e32 v177, v51, v177                              // 00000000751C: 0B636333
	v_mul_f32_e32 v178, v51, v178                              // 000000007520: 0B656533
	v_mul_f32_e32 v179, v51, v179                              // 000000007524: 0B676733
	v_mul_f32_e32 v180, v51, v180                              // 000000007528: 0B696933
	v_mul_f32_e32 v181, v51, v181                              // 00000000752C: 0B6B6B33
	v_mul_f32_e32 v182, v51, v182                              // 000000007530: 0B6D6D33
	v_mul_f32_e32 v183, v51, v183                              // 000000007534: 0B6F6F33
	s_waitcnt vmcnt(24)                                        // 000000007538: BF8C4F78
	v_mfma_f32_16x16x16_bf16 v[176:179], a[192:193], v[112:113], v[176:179]// 00000000753C: D3E100B0 0EC2E1C0
	v_mfma_f32_16x16x16_bf16 v[176:179], a[194:195], v[114:115], v[176:179]// 000000007544: D3E100B0 0EC2E5C2
	buffer_load_dwordx4 a[160:163], v192, s[20:23], 0 offen offset:1024// 00000000754C: E05C1400 8085A0C0
	v_mfma_f32_16x16x16_bf16 v[176:179], a[196:197], v[116:117], v[176:179]// 000000007554: D3E100B0 0EC2E9C4
	v_mfma_f32_16x16x16_bf16 v[176:179], a[198:199], v[118:119], v[176:179]// 00000000755C: D3E100B0 0EC2EDC6
	v_mfma_f32_16x16x16_bf16 v[176:179], a[200:201], v[120:121], v[176:179]// 000000007564: D3E100B0 0EC2F1C8
	v_mfma_f32_16x16x16_bf16 v[176:179], a[202:203], v[122:123], v[176:179]// 00000000756C: D3E100B0 0EC2F5CA
	buffer_load_dwordx4 a[164:167], v193, s[20:23], 0 offen offset:1024// 000000007574: E05C1400 8085A4C1
	v_mfma_f32_16x16x16_bf16 v[176:179], a[204:205], v[124:125], v[176:179]// 00000000757C: D3E100B0 0EC2F9CC
	v_mfma_f32_16x16x16_bf16 v[176:179], a[206:207], v[126:127], v[176:179]// 000000007584: D3E100B0 0EC2FDCE
	v_mfma_f32_16x16x16_bf16 v[176:179], a[208:209], v[128:129], v[176:179]// 00000000758C: D3E100B0 0EC301D0
	v_mfma_f32_16x16x16_bf16 v[176:179], a[210:211], v[130:131], v[176:179]// 000000007594: D3E100B0 0EC305D2
	buffer_load_dwordx4 a[168:171], v194, s[20:23], 0 offen offset:1024// 00000000759C: E05C1400 8085A8C2
	v_mfma_f32_16x16x16_bf16 v[176:179], a[212:213], v[132:133], v[176:179]// 0000000075A4: D3E100B0 0EC309D4
	v_mfma_f32_16x16x16_bf16 v[176:179], a[214:215], v[134:135], v[176:179]// 0000000075AC: D3E100B0 0EC30DD6
	v_mfma_f32_16x16x16_bf16 v[176:179], a[216:217], v[136:137], v[176:179]// 0000000075B4: D3E100B0 0EC311D8
	v_mfma_f32_16x16x16_bf16 v[176:179], a[218:219], v[138:139], v[176:179]// 0000000075BC: D3E100B0 0EC315DA
	buffer_load_dwordx4 a[172:175], v195, s[20:23], 0 offen offset:1024// 0000000075C4: E05C1400 8085ACC3
	v_mfma_f32_16x16x16_bf16 v[176:179], a[220:221], v[140:141], v[176:179]// 0000000075CC: D3E100B0 0EC319DC
	v_mfma_f32_16x16x16_bf16 v[176:179], a[222:223], v[142:143], v[176:179]// 0000000075D4: D3E100B0 0EC31DDE
	v_mfma_f32_16x16x16_bf16 v[180:183], a[224:225], v[112:113], v[180:183]// 0000000075DC: D3E100B4 0ED2E1E0
	v_mfma_f32_16x16x16_bf16 v[180:183], a[226:227], v[114:115], v[180:183]// 0000000075E4: D3E100B4 0ED2E5E2
	buffer_load_dwordx4 a[176:179], v196, s[20:23], 0 offen offset:1024// 0000000075EC: E05C1400 8085B0C4
	v_mfma_f32_16x16x16_bf16 v[180:183], a[228:229], v[116:117], v[180:183]// 0000000075F4: D3E100B4 0ED2E9E4
	v_mfma_f32_16x16x16_bf16 v[180:183], a[230:231], v[118:119], v[180:183]// 0000000075FC: D3E100B4 0ED2EDE6
	v_mfma_f32_16x16x16_bf16 v[180:183], a[232:233], v[120:121], v[180:183]// 000000007604: D3E100B4 0ED2F1E8
	v_mfma_f32_16x16x16_bf16 v[180:183], a[234:235], v[122:123], v[180:183]// 00000000760C: D3E100B4 0ED2F5EA
	buffer_load_dwordx4 a[180:183], v197, s[20:23], 0 offen offset:1024// 000000007614: E05C1400 8085B4C5
	v_mfma_f32_16x16x16_bf16 v[180:183], a[236:237], v[124:125], v[180:183]// 00000000761C: D3E100B4 0ED2F9EC
	v_mfma_f32_16x16x16_bf16 v[180:183], a[238:239], v[126:127], v[180:183]// 000000007624: D3E100B4 0ED2FDEE
	v_mfma_f32_16x16x16_bf16 v[180:183], a[240:241], v[128:129], v[180:183]// 00000000762C: D3E100B4 0ED301F0
	v_mfma_f32_16x16x16_bf16 v[180:183], a[242:243], v[130:131], v[180:183]// 000000007634: D3E100B4 0ED305F2
	buffer_load_dwordx4 a[184:187], v198, s[20:23], 0 offen offset:1024// 00000000763C: E05C1400 8085B8C6
	v_mfma_f32_16x16x16_bf16 v[180:183], a[244:245], v[132:133], v[180:183]// 000000007644: D3E100B4 0ED309F4
	v_mfma_f32_16x16x16_bf16 v[180:183], a[246:247], v[134:135], v[180:183]// 00000000764C: D3E100B4 0ED30DF6
	v_mfma_f32_16x16x16_bf16 v[180:183], a[248:249], v[136:137], v[180:183]// 000000007654: D3E100B4 0ED311F8
	v_mfma_f32_16x16x16_bf16 v[180:183], a[250:251], v[138:139], v[180:183]// 00000000765C: D3E100B4 0ED315FA
	buffer_load_dwordx4 a[188:191], v199, s[20:23], 0 offen offset:1024// 000000007664: E05C1400 8085BCC7
	v_mfma_f32_16x16x16_bf16 v[180:183], a[252:253], v[140:141], v[180:183]// 00000000766C: D3E100B4 0ED319FC
	v_mfma_f32_16x16x16_bf16 v[180:183], a[254:255], v[142:143], v[180:183]// 000000007674: D3E100B4 0ED31DFE
	s_lshr_b32 s60, s70, 4                                     // 00000000767C: 8F3C8446
	s_add_u32 s60, 48, s60                                     // 000000007680: 803C3CB0
	s_cmp_ge_u32 s60, s73                                      // 000000007684: BF09493C
	s_cselect_b32 s56, 0, s56                                  // 000000007688: 85383880
	v_mul_u32_u24_dpp v39, v18, v54 row_newbcast:0 row_mask:0xf bank_mask:0xf// 00000000768C: 104E6CFA FF015012
	v_mul_u32_u24_dpp v40, v18, v54 row_newbcast:4 row_mask:0xf bank_mask:0xf// 000000007694: 10506CFA FF015412
	v_mul_u32_u24_dpp v41, v18, v54 row_newbcast:8 row_mask:0xf bank_mask:0xf// 00000000769C: 10526CFA FF015812
	v_mul_u32_u24_dpp v42, v18, v54 row_newbcast:12 row_mask:0xf bank_mask:0xf// 0000000076A4: 10546CFA FF015C12
	v_add_u32_e32 v27, v39, v6                                 // 0000000076AC: 68360D27
	v_add_u32_e32 v28, v40, v6                                 // 0000000076B0: 68380D28
	v_add_u32_e32 v29, v41, v6                                 // 0000000076B4: 683A0D29
	v_add_u32_e32 v30, v42, v6                                 // 0000000076B8: 683C0D2A
	v_mul_u32_u24_dpp v39, v18, v54 row_newbcast:1 row_mask:0xf bank_mask:0xf// 0000000076BC: 104E6CFA FF015112
	v_mul_u32_u24_dpp v40, v18, v54 row_newbcast:2 row_mask:0xf bank_mask:0xf// 0000000076C4: 10506CFA FF015212
	v_mul_u32_u24_dpp v41, v18, v54 row_newbcast:5 row_mask:0xf bank_mask:0xf// 0000000076CC: 10526CFA FF015512
	v_mul_u32_u24_dpp v42, v18, v54 row_newbcast:6 row_mask:0xf bank_mask:0xf// 0000000076D4: 10546CFA FF015612
	v_add_u32_e32 v200, v39, v7                                // 0000000076DC: 69900F27
	v_add_u32_e32 v201, v40, v7                                // 0000000076E0: 69920F28
	v_add_u32_e32 v202, v41, v7                                // 0000000076E4: 69940F29
	v_add_u32_e32 v203, v42, v7                                // 0000000076E8: 69960F2A
	v_mul_u32_u24_dpp v39, v18, v54 row_newbcast:9 row_mask:0xf bank_mask:0xf// 0000000076EC: 104E6CFA FF015912
	v_mul_u32_u24_dpp v40, v18, v54 row_newbcast:10 row_mask:0xf bank_mask:0xf// 0000000076F4: 10506CFA FF015A12
	v_mul_u32_u24_dpp v41, v18, v54 row_newbcast:13 row_mask:0xf bank_mask:0xf// 0000000076FC: 10526CFA FF015D12
	v_mul_u32_u24_dpp v42, v18, v54 row_newbcast:7 row_mask:0xf bank_mask:0xf// 000000007704: 10546CFA FF015712
	v_add_u32_e32 v204, v39, v7                                // 00000000770C: 69980F27
	v_add_u32_e32 v205, v40, v7                                // 000000007710: 699A0F28
	v_add_u32_e32 v206, v41, v7                                // 000000007714: 699C0F29
	v_add_u32_e32 v207, v42, v7                                // 000000007718: 699E0F2A
	v_add_u32_e32 v1, s56, v1                                  // 00000000771C: 68020238
	s_addk_i32 s70, 0x100                                      // 000000007720: B7460100
	s_cmp_lt_i32 s70, s71                                      // 000000007724: BF044746
	s_cbranch_scc0 label_154D                                  // 000000007728: BF840001
	s_branch label_10FE                                        // 00000000772C: BF82FBB1

0000000000007730 <label_154D>:
	s_nop 0                                                    // 000000007730: BF800000
	s_nop 0                                                    // 000000007734: BF800000
	s_branch label_199F                                        // 000000007738: BF82044F

000000000000773c <label_1550>:
	s_waitcnt vmcnt(16) lgkmcnt(0)                             // 00000000773C: BF8C4070
	v_mfma_f32_16x16x16_bf16 v[112:115], a[0:1], v[80:81], 0   // 000000007740: D3E10070 0A02A100
	buffer_load_dwordx4 a[64:67], v27, s[16:19], 0 offen       // 000000007748: E05C1000 8084401B
	v_mfma_f32_16x16x16_bf16 v[112:115], a[2:3], v[82:83], v[112:115]// 000000007750: D3E10070 0DC2A502
	v_mfma_f32_16x16x16_bf16 v[112:115], a[4:5], v[84:85], v[112:115]// 000000007758: D3E10070 0DC2A904
	buffer_load_dword v17, v1, s[24:27], 0 offen               // 000000007760: E0501000 80061101
	v_mfma_f32_16x16x16_bf16 v[112:115], a[6:7], v[86:87], v[112:115]// 000000007768: D3E10070 0DC2AD06
	v_mfma_f32_16x16x16_bf16 v[112:115], a[8:9], v[88:89], v[112:115]// 000000007770: D3E10070 0DC2B108
	buffer_load_dwordx4 a[68:71], v27, s[16:19], 0 offen offset:1024// 000000007778: E05C1400 8084441B
	v_mfma_f32_16x16x16_bf16 v[112:115], a[10:11], v[90:91], v[112:115]// 000000007780: D3E10070 0DC2B50A
	v_mfma_f32_16x16x16_bf16 v[112:115], a[12:13], v[92:93], v[112:115]// 000000007788: D3E10070 0DC2B90C
	v_mfma_f32_16x16x16_bf16 v[112:115], a[14:15], v[94:95], v[112:115]// 000000007790: D3E10070 0DC2BD0E
	v_mfma_f32_16x16x16_bf16 v[116:119], a[16:17], v[80:81], 0 // 000000007798: D3E10074 0A02A110
	buffer_load_dwordx4 a[72:75], v27, s[16:19], 0 offen offset:2048// 0000000077A0: E05C1800 8084481B
	v_mfma_f32_16x16x16_bf16 v[116:119], a[18:19], v[82:83], v[116:119]// 0000000077A8: D3E10074 0DD2A512
	v_mfma_f32_16x16x16_bf16 v[116:119], a[20:21], v[84:85], v[116:119]// 0000000077B0: D3E10074 0DD2A914
	v_mfma_f32_16x16x16_bf16 v[116:119], a[22:23], v[86:87], v[116:119]// 0000000077B8: D3E10074 0DD2AD16
	v_mfma_f32_16x16x16_bf16 v[116:119], a[24:25], v[88:89], v[116:119]// 0000000077C0: D3E10074 0DD2B118
	buffer_load_dwordx4 a[76:79], v27, s[16:19], 0 offen offset:3072// 0000000077C8: E05C1C00 80844C1B
	v_mfma_f32_16x16x16_bf16 v[116:119], a[26:27], v[90:91], v[116:119]// 0000000077D0: D3E10074 0DD2B51A
	v_mfma_f32_16x16x16_bf16 v[116:119], a[28:29], v[92:93], v[116:119]// 0000000077D8: D3E10074 0DD2B91C
	v_mfma_f32_16x16x16_bf16 v[116:119], a[30:31], v[94:95], v[116:119]// 0000000077E0: D3E10074 0DD2BD1E
	v_mfma_f32_16x16x16_bf16 v[120:123], a[32:33], v[80:81], 0 // 0000000077E8: D3E10078 0A02A120
	buffer_load_dwordx4 a[80:83], v28, s[16:19], 0 offen       // 0000000077F0: E05C1000 8084501C
	v_mfma_f32_16x16x16_bf16 v[120:123], a[34:35], v[82:83], v[120:123]// 0000000077F8: D3E10078 0DE2A522
	v_mfma_f32_16x16x16_bf16 v[120:123], a[36:37], v[84:85], v[120:123]// 000000007800: D3E10078 0DE2A924
	v_mfma_f32_16x16x16_bf16 v[120:123], a[38:39], v[86:87], v[120:123]// 000000007808: D3E10078 0DE2AD26
	v_mfma_f32_16x16x16_bf16 v[120:123], a[40:41], v[88:89], v[120:123]// 000000007810: D3E10078 0DE2B128
	buffer_load_dwordx4 a[84:87], v28, s[16:19], 0 offen offset:1024// 000000007818: E05C1400 8084541C
	v_mfma_f32_16x16x16_bf16 v[120:123], a[42:43], v[90:91], v[120:123]// 000000007820: D3E10078 0DE2B52A
	v_mfma_f32_16x16x16_bf16 v[120:123], a[44:45], v[92:93], v[120:123]// 000000007828: D3E10078 0DE2B92C
	v_mfma_f32_16x16x16_bf16 v[120:123], a[46:47], v[94:95], v[120:123]// 000000007830: D3E10078 0DE2BD2E
	v_mfma_f32_16x16x16_bf16 v[124:127], a[48:49], v[80:81], 0 // 000000007838: D3E1007C 0A02A130
	buffer_load_dwordx4 a[88:91], v28, s[16:19], 0 offen offset:2048// 000000007840: E05C1800 8084581C
	v_mfma_f32_16x16x16_bf16 v[124:127], a[50:51], v[82:83], v[124:127]// 000000007848: D3E1007C 0DF2A532
	v_mfma_f32_16x16x16_bf16 v[124:127], a[52:53], v[84:85], v[124:127]// 000000007850: D3E1007C 0DF2A934
	v_mfma_f32_16x16x16_bf16 v[124:127], a[54:55], v[86:87], v[124:127]// 000000007858: D3E1007C 0DF2AD36
	v_mfma_f32_16x16x16_bf16 v[124:127], a[56:57], v[88:89], v[124:127]// 000000007860: D3E1007C 0DF2B138
	buffer_load_dwordx4 a[92:95], v28, s[16:19], 0 offen offset:3072// 000000007868: E05C1C00 80845C1C
	v_mfma_f32_16x16x16_bf16 v[124:127], a[58:59], v[90:91], v[124:127]// 000000007870: D3E1007C 0DF2B53A
	v_mfma_f32_16x16x16_bf16 v[124:127], a[60:61], v[92:93], v[124:127]// 000000007878: D3E1007C 0DF2B93C
	v_mfma_f32_16x16x16_bf16 v[124:127], a[62:63], v[94:95], v[124:127]// 000000007880: D3E1007C 0DF2BD3E
	buffer_load_dwordx4 a[96:99], v29, s[16:19], 0 offen       // 000000007888: E05C1000 8084601D
	s_nop 8                                                    // 000000007890: BF800008
	buffer_load_dwordx4 a[100:103], v29, s[16:19], 0 offen offset:1024// 000000007894: E05C1400 8084641D
	v_mov_b32_e32 v50, v112                                    // 00000000789C: 7E640370
	v_max3_f32 v50, v112, v113, v50                            // 0000000078A0: D1D30032 04CAE370
	v_max3_f32 v50, v114, v115, v50                            // 0000000078A8: D1D30032 04CAE772
	v_max3_f32 v50, v116, v117, v50                            // 0000000078B0: D1D30032 04CAEB74
	v_max3_f32 v50, v118, v119, v50                            // 0000000078B8: D1D30032 04CAEF76
	v_max3_f32 v50, v120, v121, v50                            // 0000000078C0: D1D30032 04CAF378
	v_max3_f32 v50, v122, v123, v50                            // 0000000078C8: D1D30032 04CAF77A
	v_max3_f32 v50, v124, v125, v50                            // 0000000078D0: D1D30032 04CAFB7C
	v_max3_f32 v50, v126, v127, v50                            // 0000000078D8: D1D30032 04CAFF7E
	ds_write_b32 v11, v50                                      // 0000000078E0: D81A0000 0000320B
	buffer_load_dwordx4 a[104:107], v29, s[16:19], 0 offen offset:2048// 0000000078E8: E05C1800 8084681D
	s_waitcnt lgkmcnt(0)                                       // 0000000078F0: BF8CC07F
	s_barrier                                                  // 0000000078F4: BF8A0000
	ds_read_b32 v64, v10                                       // 0000000078F8: D86C0000 4000000A
	buffer_load_dwordx4 a[108:111], v29, s[16:19], 0 offen offset:3072// 000000007900: E05C1C00 80846C1D
	ds_read_b32 v65, v10 offset:64                             // 000000007908: D86C0040 4100000A
	ds_read_b32 v66, v10 offset:128                            // 000000007910: D86C0080 4200000A
	ds_read_b32 v67, v10 offset:192                            // 000000007918: D86C00C0 4300000A
	ds_read_b32 v68, v10 offset:256                            // 000000007920: D86C0100 4400000A
	ds_read_b32 v69, v10 offset:320                            // 000000007928: D86C0140 4500000A
	ds_read_b32 v70, v10 offset:384                            // 000000007930: D86C0180 4600000A
	ds_read_b32 v71, v10 offset:448                            // 000000007938: D86C01C0 4700000A
	ds_read_b32 v72, v10 offset:512                            // 000000007940: D86C0200 4800000A
	buffer_load_dwordx4 a[112:115], v30, s[16:19], 0 offen     // 000000007948: E05C1000 8084701E
	ds_read_b32 v73, v10 offset:576                            // 000000007950: D86C0240 4900000A
	ds_read_b32 v74, v10 offset:640                            // 000000007958: D86C0280 4A00000A
	ds_read_b32 v75, v10 offset:704                            // 000000007960: D86C02C0 4B00000A
	ds_read_b32 v76, v10 offset:768                            // 000000007968: D86C0300 4C00000A
	ds_read_b32 v77, v10 offset:832                            // 000000007970: D86C0340 4D00000A
	ds_read_b32 v78, v10 offset:896                            // 000000007978: D86C0380 4E00000A
	ds_read_b32 v79, v10 offset:960                            // 000000007980: D86C03C0 4F00000A
	buffer_load_dwordx4 a[116:119], v30, s[16:19], 0 offen offset:1024// 000000007988: E05C1400 8084741E
	buffer_load_dwordx4 a[120:123], v30, s[16:19], 0 offen offset:2048// 000000007990: E05C1800 8084781E
	s_waitcnt lgkmcnt(0)                                       // 000000007998: BF8CC07F
	v_max3_f32 v50, v64, v65, v50                              // 00000000799C: D1D30032 04CA8340
	v_max3_f32 v50, v66, v67, v50                              // 0000000079A4: D1D30032 04CA8742
	v_max3_f32 v50, v68, v69, v50                              // 0000000079AC: D1D30032 04CA8B44
	v_max3_f32 v50, v70, v71, v50                              // 0000000079B4: D1D30032 04CA8F46
	v_max3_f32 v50, v72, v73, v50                              // 0000000079BC: D1D30032 04CA9348
	v_max3_f32 v50, v74, v75, v50                              // 0000000079C4: D1D30032 04CA974A
	v_max3_f32 v50, v76, v77, v50                              // 0000000079CC: D1D30032 04CA9B4C
	v_max3_f32 v50, v78, v79, v50                              // 0000000079D4: D1D30032 04CA9F4E
	buffer_load_dwordx4 a[124:127], v30, s[16:19], 0 offen offset:3072// 0000000079DC: E05C1C00 80847C1E
	v_cmp_eq_u32_e64 s[40:41], v55, v14                        // 0000000079E4: D0CA0028 00021D37
	s_nop 1                                                    // 0000000079EC: BF800001
	v_max_f32_e32 v16, v50, v14                                // 0000000079F0: 16201D32
	v_sub_f32_e32 v51, v14, v16                                // 0000000079F4: 0466210E
	v_cndmask_b32_e64 v51, v51, 0, s[40:41]                    // 0000000079F8: D1000033 00A10133
	v_mov_b32_e32 v14, v16                                     // 000000007A00: 7E1C0310
	v_mul_f32_e32 v53, s64, v16                                // 000000007A04: 0A6A2040
	v_mul_f32_e32 v51, s64, v51                                // 000000007A08: 0A666640
	v_exp_f32_e32 v51, v51                                     // 000000007A0C: 7E664133
	buffer_load_dwordx4 a[192:195], v200, s[20:23], 0 offen    // 000000007A10: E05C1000 8085C0C8
	v_fma_f32 v112, v112, s64, -v53                            // 000000007A18: D1CB0070 84D48170
	v_fma_f32 v113, v113, s64, -v53                            // 000000007A20: D1CB0071 84D48171
	v_fma_f32 v114, v114, s64, -v53                            // 000000007A28: D1CB0072 84D48172
	v_fma_f32 v115, v115, s64, -v53                            // 000000007A30: D1CB0073 84D48173
	v_fma_f32 v116, v116, s64, -v53                            // 000000007A38: D1CB0074 84D48174
	v_fma_f32 v117, v117, s64, -v53                            // 000000007A40: D1CB0075 84D48175
	v_fma_f32 v118, v118, s64, -v53                            // 000000007A48: D1CB0076 84D48176
	v_fma_f32 v119, v119, s64, -v53                            // 000000007A50: D1CB0077 84D48177
	v_fma_f32 v120, v120, s64, -v53                            // 000000007A58: D1CB0078 84D48178
	v_fma_f32 v121, v121, s64, -v53                            // 000000007A60: D1CB0079 84D48179
	v_fma_f32 v122, v122, s64, -v53                            // 000000007A68: D1CB007A 84D4817A
	v_fma_f32 v123, v123, s64, -v53                            // 000000007A70: D1CB007B 84D4817B
	v_fma_f32 v124, v124, s64, -v53                            // 000000007A78: D1CB007C 84D4817C
	v_fma_f32 v125, v125, s64, -v53                            // 000000007A80: D1CB007D 84D4817D
	v_fma_f32 v126, v126, s64, -v53                            // 000000007A88: D1CB007E 84D4817E
	v_fma_f32 v127, v127, s64, -v53                            // 000000007A90: D1CB007F 84D4817F
	v_exp_f32_e32 v112, v112                                   // 000000007A98: 7EE04170
	v_exp_f32_e32 v113, v113                                   // 000000007A9C: 7EE24171
	v_exp_f32_e32 v114, v114                                   // 000000007AA0: 7EE44172
	v_exp_f32_e32 v115, v115                                   // 000000007AA4: 7EE64173
	v_exp_f32_e32 v116, v116                                   // 000000007AA8: 7EE84174
	v_exp_f32_e32 v117, v117                                   // 000000007AAC: 7EEA4175
	v_exp_f32_e32 v118, v118                                   // 000000007AB0: 7EEC4176
	v_exp_f32_e32 v119, v119                                   // 000000007AB4: 7EEE4177
	v_exp_f32_e32 v120, v120                                   // 000000007AB8: 7EF04178
	v_exp_f32_e32 v121, v121                                   // 000000007ABC: 7EF24179
	v_exp_f32_e32 v122, v122                                   // 000000007AC0: 7EF4417A
	v_exp_f32_e32 v123, v123                                   // 000000007AC4: 7EF6417B
	v_exp_f32_e32 v124, v124                                   // 000000007AC8: 7EF8417C
	v_exp_f32_e32 v125, v125                                   // 000000007ACC: 7EFA417D
	v_exp_f32_e32 v126, v126                                   // 000000007AD0: 7EFC417E
	v_exp_f32_e32 v127, v127                                   // 000000007AD4: 7EFE417F
	buffer_load_dwordx4 a[196:199], v201, s[20:23], 0 offen    // 000000007AD8: E05C1000 8085C4C9
	v_mul_f32_e32 v43, v51, v43                                // 000000007AE0: 0A565733
	v_mov_b32_e32 v45, v112                                    // 000000007AE4: 7E5A0370
	v_add_f32_e32 v45, v113, v45                               // 000000007AE8: 025A5B71
	v_add_f32_e32 v45, v114, v45                               // 000000007AEC: 025A5B72
	v_add_f32_e32 v45, v115, v45                               // 000000007AF0: 025A5B73
	v_add_f32_e32 v45, v116, v45                               // 000000007AF4: 025A5B74
	v_add_f32_e32 v45, v117, v45                               // 000000007AF8: 025A5B75
	v_add_f32_e32 v45, v118, v45                               // 000000007AFC: 025A5B76
	v_add_f32_e32 v45, v119, v45                               // 000000007B00: 025A5B77
	v_add_f32_e32 v45, v120, v45                               // 000000007B04: 025A5B78
	v_add_f32_e32 v45, v121, v45                               // 000000007B08: 025A5B79
	v_add_f32_e32 v45, v122, v45                               // 000000007B0C: 025A5B7A
	v_add_f32_e32 v45, v123, v45                               // 000000007B10: 025A5B7B
	v_add_f32_e32 v45, v124, v45                               // 000000007B14: 025A5B7C
	v_add_f32_e32 v45, v125, v45                               // 000000007B18: 025A5B7D
	v_add_f32_e32 v45, v126, v45                               // 000000007B1C: 025A5B7E
	v_add_f32_e32 v45, v127, v45                               // 000000007B20: 025A5B7F
	v_add_f32_e32 v43, v45, v43                                // 000000007B24: 0256572D
	buffer_load_dwordx4 a[200:203], v202, s[20:23], 0 offen    // 000000007B28: E05C1000 8085C8CA
	v_cmp_u_f32_e64 s[40:41], v112, v112                       // 000000007B30: D0480028 0002E170
	v_add3_u32 v19, v112, v22, 1                               // 000000007B38: D1FF0013 02062D70
	v_cndmask_b32_e64 v39, v19, v21, s[40:41]                  // 000000007B40: D1000027 00A22B13
	v_cmp_u_f32_e64 s[40:41], v113, v113                       // 000000007B48: D0480028 0002E371
	v_add3_u32 v19, v113, v22, 1                               // 000000007B50: D1FF0013 02062D71
	v_cndmask_b32_e64 v40, v19, v21, s[40:41]                  // 000000007B58: D1000028 00A22B13
	v_perm_b32 v112, v40, v39, s52                             // 000000007B60: D1ED0070 00D24F28
	v_cmp_u_f32_e64 s[40:41], v114, v114                       // 000000007B68: D0480028 0002E572
	v_add3_u32 v19, v114, v22, 1                               // 000000007B70: D1FF0013 02062D72
	v_cndmask_b32_e64 v39, v19, v21, s[40:41]                  // 000000007B78: D1000027 00A22B13
	v_cmp_u_f32_e64 s[40:41], v115, v115                       // 000000007B80: D0480028 0002E773
	v_add3_u32 v19, v115, v22, 1                               // 000000007B88: D1FF0013 02062D73
	v_cndmask_b32_e64 v40, v19, v21, s[40:41]                  // 000000007B90: D1000028 00A22B13
	v_perm_b32 v113, v40, v39, s52                             // 000000007B98: D1ED0071 00D24F28
	v_cmp_u_f32_e64 s[40:41], v116, v116                       // 000000007BA0: D0480028 0002E974
	v_add3_u32 v19, v116, v22, 1                               // 000000007BA8: D1FF0013 02062D74
	v_cndmask_b32_e64 v39, v19, v21, s[40:41]                  // 000000007BB0: D1000027 00A22B13
	v_cmp_u_f32_e64 s[40:41], v117, v117                       // 000000007BB8: D0480028 0002EB75
	v_add3_u32 v19, v117, v22, 1                               // 000000007BC0: D1FF0013 02062D75
	v_cndmask_b32_e64 v40, v19, v21, s[40:41]                  // 000000007BC8: D1000028 00A22B13
	v_perm_b32 v114, v40, v39, s52                             // 000000007BD0: D1ED0072 00D24F28
	v_cmp_u_f32_e64 s[40:41], v118, v118                       // 000000007BD8: D0480028 0002ED76
	v_add3_u32 v19, v118, v22, 1                               // 000000007BE0: D1FF0013 02062D76
	v_cndmask_b32_e64 v39, v19, v21, s[40:41]                  // 000000007BE8: D1000027 00A22B13
	v_cmp_u_f32_e64 s[40:41], v119, v119                       // 000000007BF0: D0480028 0002EF77
	v_add3_u32 v19, v119, v22, 1                               // 000000007BF8: D1FF0013 02062D77
	v_cndmask_b32_e64 v40, v19, v21, s[40:41]                  // 000000007C00: D1000028 00A22B13
	v_perm_b32 v115, v40, v39, s52                             // 000000007C08: D1ED0073 00D24F28
	v_cmp_u_f32_e64 s[40:41], v120, v120                       // 000000007C10: D0480028 0002F178
	v_add3_u32 v19, v120, v22, 1                               // 000000007C18: D1FF0013 02062D78
	v_cndmask_b32_e64 v39, v19, v21, s[40:41]                  // 000000007C20: D1000027 00A22B13
	v_cmp_u_f32_e64 s[40:41], v121, v121                       // 000000007C28: D0480028 0002F379
	v_add3_u32 v19, v121, v22, 1                               // 000000007C30: D1FF0013 02062D79
	v_cndmask_b32_e64 v40, v19, v21, s[40:41]                  // 000000007C38: D1000028 00A22B13
	v_perm_b32 v116, v40, v39, s52                             // 000000007C40: D1ED0074 00D24F28
	v_cmp_u_f32_e64 s[40:41], v122, v122                       // 000000007C48: D0480028 0002F57A
	v_add3_u32 v19, v122, v22, 1                               // 000000007C50: D1FF0013 02062D7A
	v_cndmask_b32_e64 v39, v19, v21, s[40:41]                  // 000000007C58: D1000027 00A22B13
	v_cmp_u_f32_e64 s[40:41], v123, v123                       // 000000007C60: D0480028 0002F77B
	v_add3_u32 v19, v123, v22, 1                               // 000000007C68: D1FF0013 02062D7B
	v_cndmask_b32_e64 v40, v19, v21, s[40:41]                  // 000000007C70: D1000028 00A22B13
	v_perm_b32 v117, v40, v39, s52                             // 000000007C78: D1ED0075 00D24F28
	v_cmp_u_f32_e64 s[40:41], v124, v124                       // 000000007C80: D0480028 0002F97C
	v_add3_u32 v19, v124, v22, 1                               // 000000007C88: D1FF0013 02062D7C
	v_cndmask_b32_e64 v39, v19, v21, s[40:41]                  // 000000007C90: D1000027 00A22B13
	v_cmp_u_f32_e64 s[40:41], v125, v125                       // 000000007C98: D0480028 0002FB7D
	v_add3_u32 v19, v125, v22, 1                               // 000000007CA0: D1FF0013 02062D7D
	v_cndmask_b32_e64 v40, v19, v21, s[40:41]                  // 000000007CA8: D1000028 00A22B13
	v_perm_b32 v118, v40, v39, s52                             // 000000007CB0: D1ED0076 00D24F28
	v_cmp_u_f32_e64 s[40:41], v126, v126                       // 000000007CB8: D0480028 0002FD7E
	v_add3_u32 v19, v126, v22, 1                               // 000000007CC0: D1FF0013 02062D7E
	v_cndmask_b32_e64 v39, v19, v21, s[40:41]                  // 000000007CC8: D1000027 00A22B13
	v_cmp_u_f32_e64 s[40:41], v127, v127                       // 000000007CD0: D0480028 0002FF7F
	v_add3_u32 v19, v127, v22, 1                               // 000000007CD8: D1FF0013 02062D7F
	v_cndmask_b32_e64 v40, v19, v21, s[40:41]                  // 000000007CE0: D1000028 00A22B13
	v_perm_b32 v119, v40, v39, s52                             // 000000007CE8: D1ED0077 00D24F28
	buffer_load_dwordx4 a[204:207], v203, s[20:23], 0 offen    // 000000007CF0: E05C1000 8085CCCB
	buffer_load_dwordx4 a[208:211], v204, s[20:23], 0 offen    // 000000007CF8: E05C1000 8085D0CC
	ds_write_b64 v13, v[112:113] offset:4096                   // 000000007D00: D89A1000 0000700D
	ds_write_b64 v13, v[114:115] offset:6144                   // 000000007D08: D89A1800 0000720D
	ds_write_b64 v13, v[116:117] offset:8192                   // 000000007D10: D89A2000 0000740D
	ds_write_b64 v13, v[118:119] offset:10240                  // 000000007D18: D89A2800 0000760D
	buffer_load_dwordx4 a[212:215], v205, s[20:23], 0 offen    // 000000007D20: E05C1000 8085D4CD
	s_waitcnt lgkmcnt(0)                                       // 000000007D28: BF8CC07F
	s_barrier                                                  // 000000007D2C: BF8A0000
	ds_read_b64 v[112:113], v12 offset:4096                    // 000000007D30: D8EC1000 7000000C
	ds_read_b64 v[114:115], v12 offset:4224                    // 000000007D38: D8EC1080 7200000C
	ds_read_b64 v[116:117], v12 offset:5120                    // 000000007D40: D8EC1400 7400000C
	ds_read_b64 v[118:119], v12 offset:5248                    // 000000007D48: D8EC1480 7600000C
	ds_read_b64 v[120:121], v12 offset:6144                    // 000000007D50: D8EC1800 7800000C
	ds_read_b64 v[122:123], v12 offset:6272                    // 000000007D58: D8EC1880 7A00000C
	ds_read_b64 v[124:125], v12 offset:7168                    // 000000007D60: D8EC1C00 7C00000C
	ds_read_b64 v[126:127], v12 offset:7296                    // 000000007D68: D8EC1C80 7E00000C
	ds_read_b64 v[128:129], v12 offset:8192                    // 000000007D70: D8EC2000 8000000C
	ds_read_b64 v[130:131], v12 offset:8320                    // 000000007D78: D8EC2080 8200000C
	ds_read_b64 v[132:133], v12 offset:9216                    // 000000007D80: D8EC2400 8400000C
	ds_read_b64 v[134:135], v12 offset:9344                    // 000000007D88: D8EC2480 8600000C
	ds_read_b64 v[136:137], v12 offset:10240                   // 000000007D90: D8EC2800 8800000C
	ds_read_b64 v[138:139], v12 offset:10368                   // 000000007D98: D8EC2880 8A00000C
	ds_read_b64 v[140:141], v12 offset:11264                   // 000000007DA0: D8EC2C00 8C00000C
	ds_read_b64 v[142:143], v12 offset:11392                   // 000000007DA8: D8EC2C80 8E00000C
	buffer_load_dwordx4 a[216:219], v206, s[20:23], 0 offen    // 000000007DB0: E05C1000 8085D8CE
	buffer_load_dwordx4 a[220:223], v207, s[20:23], 0 offen    // 000000007DB8: E05C1000 8085DCCF
	s_waitcnt lgkmcnt(0)                                       // 000000007DC0: BF8CC07F
	v_mul_f32_e32 v176, v51, v176                              // 000000007DC4: 0B616133
	v_mul_f32_e32 v177, v51, v177                              // 000000007DC8: 0B636333
	v_mul_f32_e32 v178, v51, v178                              // 000000007DCC: 0B656533
	v_mul_f32_e32 v179, v51, v179                              // 000000007DD0: 0B676733
	v_mul_f32_e32 v180, v51, v180                              // 000000007DD4: 0B696933
	v_mul_f32_e32 v181, v51, v181                              // 000000007DD8: 0B6B6B33
	v_mul_f32_e32 v182, v51, v182                              // 000000007DDC: 0B6D6D33
	v_mul_f32_e32 v183, v51, v183                              // 000000007DE0: 0B6F6F33
	s_waitcnt vmcnt(24)                                        // 000000007DE4: BF8C4F78
	v_mfma_f32_16x16x16_bf16 v[176:179], a[128:129], v[112:113], v[176:179]// 000000007DE8: D3E100B0 0EC2E180
	buffer_load_dwordx4 a[224:227], v200, s[20:23], 0 offen offset:1024// 000000007DF0: E05C1400 8085E0C8
	v_mfma_f32_16x16x16_bf16 v[176:179], a[130:131], v[114:115], v[176:179]// 000000007DF8: D3E100B0 0EC2E582
	v_mfma_f32_16x16x16_bf16 v[176:179], a[132:133], v[116:117], v[176:179]// 000000007E00: D3E100B0 0EC2E984
	v_mfma_f32_16x16x16_bf16 v[176:179], a[134:135], v[118:119], v[176:179]// 000000007E08: D3E100B0 0EC2ED86
	v_mfma_f32_16x16x16_bf16 v[176:179], a[136:137], v[120:121], v[176:179]// 000000007E10: D3E100B0 0EC2F188
	buffer_load_dwordx4 a[228:231], v201, s[20:23], 0 offen offset:1024// 000000007E18: E05C1400 8085E4C9
	v_mfma_f32_16x16x16_bf16 v[176:179], a[138:139], v[122:123], v[176:179]// 000000007E20: D3E100B0 0EC2F58A
	v_mfma_f32_16x16x16_bf16 v[176:179], a[140:141], v[124:125], v[176:179]// 000000007E28: D3E100B0 0EC2F98C
	v_mfma_f32_16x16x16_bf16 v[176:179], a[142:143], v[126:127], v[176:179]// 000000007E30: D3E100B0 0EC2FD8E
	v_mfma_f32_16x16x16_bf16 v[176:179], a[144:145], v[128:129], v[176:179]// 000000007E38: D3E100B0 0EC30190
	buffer_load_dwordx4 a[232:235], v202, s[20:23], 0 offen offset:1024// 000000007E40: E05C1400 8085E8CA
	v_mfma_f32_16x16x16_bf16 v[176:179], a[146:147], v[130:131], v[176:179]// 000000007E48: D3E100B0 0EC30592
	v_mfma_f32_16x16x16_bf16 v[176:179], a[148:149], v[132:133], v[176:179]// 000000007E50: D3E100B0 0EC30994
	v_mfma_f32_16x16x16_bf16 v[176:179], a[150:151], v[134:135], v[176:179]// 000000007E58: D3E100B0 0EC30D96
	v_mfma_f32_16x16x16_bf16 v[176:179], a[152:153], v[136:137], v[176:179]// 000000007E60: D3E100B0 0EC31198
	buffer_load_dwordx4 a[236:239], v203, s[20:23], 0 offen offset:1024// 000000007E68: E05C1400 8085ECCB
	v_mfma_f32_16x16x16_bf16 v[176:179], a[154:155], v[138:139], v[176:179]// 000000007E70: D3E100B0 0EC3159A
	v_mfma_f32_16x16x16_bf16 v[176:179], a[156:157], v[140:141], v[176:179]// 000000007E78: D3E100B0 0EC3199C
	v_mfma_f32_16x16x16_bf16 v[176:179], a[158:159], v[142:143], v[176:179]// 000000007E80: D3E100B0 0EC31D9E
	v_mfma_f32_16x16x16_bf16 v[180:183], a[160:161], v[112:113], v[180:183]// 000000007E88: D3E100B4 0ED2E1A0
	buffer_load_dwordx4 a[240:243], v204, s[20:23], 0 offen offset:1024// 000000007E90: E05C1400 8085F0CC
	v_mfma_f32_16x16x16_bf16 v[180:183], a[162:163], v[114:115], v[180:183]// 000000007E98: D3E100B4 0ED2E5A2
	v_mfma_f32_16x16x16_bf16 v[180:183], a[164:165], v[116:117], v[180:183]// 000000007EA0: D3E100B4 0ED2E9A4
	v_mfma_f32_16x16x16_bf16 v[180:183], a[166:167], v[118:119], v[180:183]// 000000007EA8: D3E100B4 0ED2EDA6
	v_mfma_f32_16x16x16_bf16 v[180:183], a[168:169], v[120:121], v[180:183]// 000000007EB0: D3E100B4 0ED2F1A8
	buffer_load_dwordx4 a[244:247], v205, s[20:23], 0 offen offset:1024// 000000007EB8: E05C1400 8085F4CD
	v_mfma_f32_16x16x16_bf16 v[180:183], a[170:171], v[122:123], v[180:183]// 000000007EC0: D3E100B4 0ED2F5AA
	v_mfma_f32_16x16x16_bf16 v[180:183], a[172:173], v[124:125], v[180:183]// 000000007EC8: D3E100B4 0ED2F9AC
	v_mfma_f32_16x16x16_bf16 v[180:183], a[174:175], v[126:127], v[180:183]// 000000007ED0: D3E100B4 0ED2FDAE
	v_mfma_f32_16x16x16_bf16 v[180:183], a[176:177], v[128:129], v[180:183]// 000000007ED8: D3E100B4 0ED301B0
	buffer_load_dwordx4 a[248:251], v206, s[20:23], 0 offen offset:1024// 000000007EE0: E05C1400 8085F8CE
	v_mfma_f32_16x16x16_bf16 v[180:183], a[178:179], v[130:131], v[180:183]// 000000007EE8: D3E100B4 0ED305B2
	v_mfma_f32_16x16x16_bf16 v[180:183], a[180:181], v[132:133], v[180:183]// 000000007EF0: D3E100B4 0ED309B4
	v_mfma_f32_16x16x16_bf16 v[180:183], a[182:183], v[134:135], v[180:183]// 000000007EF8: D3E100B4 0ED30DB6
	v_mfma_f32_16x16x16_bf16 v[180:183], a[184:185], v[136:137], v[180:183]// 000000007F00: D3E100B4 0ED311B8
	buffer_load_dwordx4 a[252:255], v207, s[20:23], 0 offen offset:1024// 000000007F08: E05C1400 8085FCCF
	v_mfma_f32_16x16x16_bf16 v[180:183], a[186:187], v[138:139], v[180:183]// 000000007F10: D3E100B4 0ED315BA
	v_mfma_f32_16x16x16_bf16 v[180:183], a[188:189], v[140:141], v[180:183]// 000000007F18: D3E100B4 0ED319BC
	v_mfma_f32_16x16x16_bf16 v[180:183], a[190:191], v[142:143], v[180:183]// 000000007F20: D3E100B4 0ED31DBE
	s_lshr_b32 s60, s70, 4                                     // 000000007F28: 8F3C8446
	s_add_u32 s60, 48, s60                                     // 000000007F2C: 803C3CB0
	s_cmp_ge_u32 s60, s73                                      // 000000007F30: BF09493C
	s_cselect_b32 s56, 0, s56                                  // 000000007F34: 85383880
	v_mul_u32_u24_dpp v39, v17, v54 row_newbcast:0 row_mask:0xf bank_mask:0xf// 000000007F38: 104E6CFA FF015011
	v_mul_u32_u24_dpp v40, v17, v54 row_newbcast:4 row_mask:0xf bank_mask:0xf// 000000007F40: 10506CFA FF015411
	v_mul_u32_u24_dpp v41, v17, v54 row_newbcast:8 row_mask:0xf bank_mask:0xf// 000000007F48: 10526CFA FF015811
	v_mul_u32_u24_dpp v42, v17, v54 row_newbcast:12 row_mask:0xf bank_mask:0xf// 000000007F50: 10546CFA FF015C11
	v_add_u32_e32 v23, v39, v6                                 // 000000007F58: 682E0D27
	v_add_u32_e32 v24, v40, v6                                 // 000000007F5C: 68300D28
	v_add_u32_e32 v25, v41, v6                                 // 000000007F60: 68320D29
	v_add_u32_e32 v26, v42, v6                                 // 000000007F64: 68340D2A
	v_mul_u32_u24_dpp v39, v17, v54 row_newbcast:1 row_mask:0xf bank_mask:0xf// 000000007F68: 104E6CFA FF015111
	v_mul_u32_u24_dpp v40, v17, v54 row_newbcast:2 row_mask:0xf bank_mask:0xf// 000000007F70: 10506CFA FF015211
	v_mul_u32_u24_dpp v41, v17, v54 row_newbcast:5 row_mask:0xf bank_mask:0xf// 000000007F78: 10526CFA FF015511
	v_mul_u32_u24_dpp v42, v17, v54 row_newbcast:6 row_mask:0xf bank_mask:0xf// 000000007F80: 10546CFA FF015611
	v_add_u32_e32 v192, v39, v7                                // 000000007F88: 69800F27
	v_add_u32_e32 v193, v40, v7                                // 000000007F8C: 69820F28
	v_add_u32_e32 v194, v41, v7                                // 000000007F90: 69840F29
	v_add_u32_e32 v195, v42, v7                                // 000000007F94: 69860F2A
	v_mul_u32_u24_dpp v39, v17, v54 row_newbcast:9 row_mask:0xf bank_mask:0xf// 000000007F98: 104E6CFA FF015911
	v_mul_u32_u24_dpp v40, v17, v54 row_newbcast:10 row_mask:0xf bank_mask:0xf// 000000007FA0: 10506CFA FF015A11
	v_mul_u32_u24_dpp v41, v17, v54 row_newbcast:13 row_mask:0xf bank_mask:0xf// 000000007FA8: 10526CFA FF015D11
	v_mul_u32_u24_dpp v42, v17, v54 row_newbcast:7 row_mask:0xf bank_mask:0xf// 000000007FB0: 10546CFA FF015711
	v_add_u32_e32 v196, v39, v7                                // 000000007FB8: 69880F27
	v_add_u32_e32 v197, v40, v7                                // 000000007FBC: 698A0F28
	v_add_u32_e32 v198, v41, v7                                // 000000007FC0: 698C0F29
	v_add_u32_e32 v199, v42, v7                                // 000000007FC4: 698E0F2A
	v_add_u32_e32 v1, s56, v1                                  // 000000007FC8: 68020238
	s_addk_i32 s70, 0x100                                      // 000000007FCC: B7460100
	s_cmp_lt_i32 s70, s71                                      // 000000007FD0: BF044746
	s_cbranch_scc0 label_154D                                  // 000000007FD4: BF84FDD6
	s_waitcnt vmcnt(16) lgkmcnt(0)                             // 000000007FD8: BF8C4070
	v_mfma_f32_16x16x16_bf16 v[112:115], a[64:65], v[80:81], 0 // 000000007FDC: D3E10070 0A02A140
	buffer_load_dwordx4 a[0:3], v23, s[16:19], 0 offen         // 000000007FE4: E05C1000 80840017
	v_mfma_f32_16x16x16_bf16 v[112:115], a[66:67], v[82:83], v[112:115]// 000000007FEC: D3E10070 0DC2A542
	v_mfma_f32_16x16x16_bf16 v[112:115], a[68:69], v[84:85], v[112:115]// 000000007FF4: D3E10070 0DC2A944
	buffer_load_dword v18, v1, s[24:27], 0 offen               // 000000007FFC: E0501000 80061201
	v_mfma_f32_16x16x16_bf16 v[112:115], a[70:71], v[86:87], v[112:115]// 000000008004: D3E10070 0DC2AD46
	v_mfma_f32_16x16x16_bf16 v[112:115], a[72:73], v[88:89], v[112:115]// 00000000800C: D3E10070 0DC2B148
	buffer_load_dwordx4 a[4:7], v23, s[16:19], 0 offen offset:1024// 000000008014: E05C1400 80840417
	v_mfma_f32_16x16x16_bf16 v[112:115], a[74:75], v[90:91], v[112:115]// 00000000801C: D3E10070 0DC2B54A
	v_mfma_f32_16x16x16_bf16 v[112:115], a[76:77], v[92:93], v[112:115]// 000000008024: D3E10070 0DC2B94C
	v_mfma_f32_16x16x16_bf16 v[112:115], a[78:79], v[94:95], v[112:115]// 00000000802C: D3E10070 0DC2BD4E
	v_mfma_f32_16x16x16_bf16 v[116:119], a[80:81], v[80:81], 0 // 000000008034: D3E10074 0A02A150
	buffer_load_dwordx4 a[8:11], v23, s[16:19], 0 offen offset:2048// 00000000803C: E05C1800 80840817
	v_mfma_f32_16x16x16_bf16 v[116:119], a[82:83], v[82:83], v[116:119]// 000000008044: D3E10074 0DD2A552
	v_mfma_f32_16x16x16_bf16 v[116:119], a[84:85], v[84:85], v[116:119]// 00000000804C: D3E10074 0DD2A954
	v_mfma_f32_16x16x16_bf16 v[116:119], a[86:87], v[86:87], v[116:119]// 000000008054: D3E10074 0DD2AD56
	v_mfma_f32_16x16x16_bf16 v[116:119], a[88:89], v[88:89], v[116:119]// 00000000805C: D3E10074 0DD2B158
	buffer_load_dwordx4 a[12:15], v23, s[16:19], 0 offen offset:3072// 000000008064: E05C1C00 80840C17
	v_mfma_f32_16x16x16_bf16 v[116:119], a[90:91], v[90:91], v[116:119]// 00000000806C: D3E10074 0DD2B55A
	v_mfma_f32_16x16x16_bf16 v[116:119], a[92:93], v[92:93], v[116:119]// 000000008074: D3E10074 0DD2B95C
	v_mfma_f32_16x16x16_bf16 v[116:119], a[94:95], v[94:95], v[116:119]// 00000000807C: D3E10074 0DD2BD5E
	v_mfma_f32_16x16x16_bf16 v[120:123], a[96:97], v[80:81], 0 // 000000008084: D3E10078 0A02A160
	buffer_load_dwordx4 a[16:19], v24, s[16:19], 0 offen       // 00000000808C: E05C1000 80841018
	v_mfma_f32_16x16x16_bf16 v[120:123], a[98:99], v[82:83], v[120:123]// 000000008094: D3E10078 0DE2A562
	v_mfma_f32_16x16x16_bf16 v[120:123], a[100:101], v[84:85], v[120:123]// 00000000809C: D3E10078 0DE2A964
	v_mfma_f32_16x16x16_bf16 v[120:123], a[102:103], v[86:87], v[120:123]// 0000000080A4: D3E10078 0DE2AD66
	v_mfma_f32_16x16x16_bf16 v[120:123], a[104:105], v[88:89], v[120:123]// 0000000080AC: D3E10078 0DE2B168
	buffer_load_dwordx4 a[20:23], v24, s[16:19], 0 offen offset:1024// 0000000080B4: E05C1400 80841418
	v_mfma_f32_16x16x16_bf16 v[120:123], a[106:107], v[90:91], v[120:123]// 0000000080BC: D3E10078 0DE2B56A
	v_mfma_f32_16x16x16_bf16 v[120:123], a[108:109], v[92:93], v[120:123]// 0000000080C4: D3E10078 0DE2B96C
	v_mfma_f32_16x16x16_bf16 v[120:123], a[110:111], v[94:95], v[120:123]// 0000000080CC: D3E10078 0DE2BD6E
	v_mfma_f32_16x16x16_bf16 v[124:127], a[112:113], v[80:81], 0// 0000000080D4: D3E1007C 0A02A170
	buffer_load_dwordx4 a[24:27], v24, s[16:19], 0 offen offset:2048// 0000000080DC: E05C1800 80841818
	v_mfma_f32_16x16x16_bf16 v[124:127], a[114:115], v[82:83], v[124:127]// 0000000080E4: D3E1007C 0DF2A572
	v_mfma_f32_16x16x16_bf16 v[124:127], a[116:117], v[84:85], v[124:127]// 0000000080EC: D3E1007C 0DF2A974
	v_mfma_f32_16x16x16_bf16 v[124:127], a[118:119], v[86:87], v[124:127]// 0000000080F4: D3E1007C 0DF2AD76
	v_mfma_f32_16x16x16_bf16 v[124:127], a[120:121], v[88:89], v[124:127]// 0000000080FC: D3E1007C 0DF2B178
	buffer_load_dwordx4 a[28:31], v24, s[16:19], 0 offen offset:3072// 000000008104: E05C1C00 80841C18
	v_mfma_f32_16x16x16_bf16 v[124:127], a[122:123], v[90:91], v[124:127]// 00000000810C: D3E1007C 0DF2B57A
	v_mfma_f32_16x16x16_bf16 v[124:127], a[124:125], v[92:93], v[124:127]// 000000008114: D3E1007C 0DF2B97C
	v_mfma_f32_16x16x16_bf16 v[124:127], a[126:127], v[94:95], v[124:127]// 00000000811C: D3E1007C 0DF2BD7E
	buffer_load_dwordx4 a[32:35], v25, s[16:19], 0 offen       // 000000008124: E05C1000 80842019
	s_nop 8                                                    // 00000000812C: BF800008
	buffer_load_dwordx4 a[36:39], v25, s[16:19], 0 offen offset:1024// 000000008130: E05C1400 80842419
	v_mov_b32_e32 v50, v112                                    // 000000008138: 7E640370
	v_max3_f32 v50, v112, v113, v50                            // 00000000813C: D1D30032 04CAE370
	v_max3_f32 v50, v114, v115, v50                            // 000000008144: D1D30032 04CAE772
	v_max3_f32 v50, v116, v117, v50                            // 00000000814C: D1D30032 04CAEB74
	v_max3_f32 v50, v118, v119, v50                            // 000000008154: D1D30032 04CAEF76
	v_max3_f32 v50, v120, v121, v50                            // 00000000815C: D1D30032 04CAF378
	v_max3_f32 v50, v122, v123, v50                            // 000000008164: D1D30032 04CAF77A
	v_max3_f32 v50, v124, v125, v50                            // 00000000816C: D1D30032 04CAFB7C
	v_max3_f32 v50, v126, v127, v50                            // 000000008174: D1D30032 04CAFF7E
	ds_write_b32 v11, v50                                      // 00000000817C: D81A0000 0000320B
	buffer_load_dwordx4 a[40:43], v25, s[16:19], 0 offen offset:2048// 000000008184: E05C1800 80842819
	s_waitcnt lgkmcnt(0)                                       // 00000000818C: BF8CC07F
	s_barrier                                                  // 000000008190: BF8A0000
	ds_read_b32 v64, v10                                       // 000000008194: D86C0000 4000000A
	buffer_load_dwordx4 a[44:47], v25, s[16:19], 0 offen offset:3072// 00000000819C: E05C1C00 80842C19
	ds_read_b32 v65, v10 offset:64                             // 0000000081A4: D86C0040 4100000A
	ds_read_b32 v66, v10 offset:128                            // 0000000081AC: D86C0080 4200000A
	ds_read_b32 v67, v10 offset:192                            // 0000000081B4: D86C00C0 4300000A
	ds_read_b32 v68, v10 offset:256                            // 0000000081BC: D86C0100 4400000A
	ds_read_b32 v69, v10 offset:320                            // 0000000081C4: D86C0140 4500000A
	ds_read_b32 v70, v10 offset:384                            // 0000000081CC: D86C0180 4600000A
	ds_read_b32 v71, v10 offset:448                            // 0000000081D4: D86C01C0 4700000A
	ds_read_b32 v72, v10 offset:512                            // 0000000081DC: D86C0200 4800000A
	buffer_load_dwordx4 a[48:51], v26, s[16:19], 0 offen       // 0000000081E4: E05C1000 8084301A
	ds_read_b32 v73, v10 offset:576                            // 0000000081EC: D86C0240 4900000A
	ds_read_b32 v74, v10 offset:640                            // 0000000081F4: D86C0280 4A00000A
	ds_read_b32 v75, v10 offset:704                            // 0000000081FC: D86C02C0 4B00000A
	ds_read_b32 v76, v10 offset:768                            // 000000008204: D86C0300 4C00000A
	ds_read_b32 v77, v10 offset:832                            // 00000000820C: D86C0340 4D00000A
	ds_read_b32 v78, v10 offset:896                            // 000000008214: D86C0380 4E00000A
	ds_read_b32 v79, v10 offset:960                            // 00000000821C: D86C03C0 4F00000A
	buffer_load_dwordx4 a[52:55], v26, s[16:19], 0 offen offset:1024// 000000008224: E05C1400 8084341A
	buffer_load_dwordx4 a[56:59], v26, s[16:19], 0 offen offset:2048// 00000000822C: E05C1800 8084381A
	s_waitcnt lgkmcnt(0)                                       // 000000008234: BF8CC07F
	v_max3_f32 v50, v64, v65, v50                              // 000000008238: D1D30032 04CA8340
	v_max3_f32 v50, v66, v67, v50                              // 000000008240: D1D30032 04CA8742
	v_max3_f32 v50, v68, v69, v50                              // 000000008248: D1D30032 04CA8B44
	v_max3_f32 v50, v70, v71, v50                              // 000000008250: D1D30032 04CA8F46
	v_max3_f32 v50, v72, v73, v50                              // 000000008258: D1D30032 04CA9348
	v_max3_f32 v50, v74, v75, v50                              // 000000008260: D1D30032 04CA974A
	v_max3_f32 v50, v76, v77, v50                              // 000000008268: D1D30032 04CA9B4C
	v_max3_f32 v50, v78, v79, v50                              // 000000008270: D1D30032 04CA9F4E
	buffer_load_dwordx4 a[60:63], v26, s[16:19], 0 offen offset:3072// 000000008278: E05C1C00 80843C1A
	v_cmp_eq_u32_e64 s[40:41], v55, v14                        // 000000008280: D0CA0028 00021D37
	s_nop 1                                                    // 000000008288: BF800001
	v_max_f32_e32 v16, v50, v14                                // 00000000828C: 16201D32
	v_sub_f32_e32 v51, v14, v16                                // 000000008290: 0466210E
	v_cndmask_b32_e64 v51, v51, 0, s[40:41]                    // 000000008294: D1000033 00A10133
	v_mov_b32_e32 v14, v16                                     // 00000000829C: 7E1C0310
	v_mul_f32_e32 v53, s64, v16                                // 0000000082A0: 0A6A2040
	v_mul_f32_e32 v51, s64, v51                                // 0000000082A4: 0A666640
	v_exp_f32_e32 v51, v51                                     // 0000000082A8: 7E664133
	buffer_load_dwordx4 a[128:131], v192, s[20:23], 0 offen    // 0000000082AC: E05C1000 808580C0
	v_fma_f32 v112, v112, s64, -v53                            // 0000000082B4: D1CB0070 84D48170
	v_fma_f32 v113, v113, s64, -v53                            // 0000000082BC: D1CB0071 84D48171
	v_fma_f32 v114, v114, s64, -v53                            // 0000000082C4: D1CB0072 84D48172
	v_fma_f32 v115, v115, s64, -v53                            // 0000000082CC: D1CB0073 84D48173
	v_fma_f32 v116, v116, s64, -v53                            // 0000000082D4: D1CB0074 84D48174
	v_fma_f32 v117, v117, s64, -v53                            // 0000000082DC: D1CB0075 84D48175
	v_fma_f32 v118, v118, s64, -v53                            // 0000000082E4: D1CB0076 84D48176
	v_fma_f32 v119, v119, s64, -v53                            // 0000000082EC: D1CB0077 84D48177
	v_fma_f32 v120, v120, s64, -v53                            // 0000000082F4: D1CB0078 84D48178
	v_fma_f32 v121, v121, s64, -v53                            // 0000000082FC: D1CB0079 84D48179
	v_fma_f32 v122, v122, s64, -v53                            // 000000008304: D1CB007A 84D4817A
	v_fma_f32 v123, v123, s64, -v53                            // 00000000830C: D1CB007B 84D4817B
	v_fma_f32 v124, v124, s64, -v53                            // 000000008314: D1CB007C 84D4817C
	v_fma_f32 v125, v125, s64, -v53                            // 00000000831C: D1CB007D 84D4817D
	v_fma_f32 v126, v126, s64, -v53                            // 000000008324: D1CB007E 84D4817E
	v_fma_f32 v127, v127, s64, -v53                            // 00000000832C: D1CB007F 84D4817F
	v_exp_f32_e32 v112, v112                                   // 000000008334: 7EE04170
	v_exp_f32_e32 v113, v113                                   // 000000008338: 7EE24171
	v_exp_f32_e32 v114, v114                                   // 00000000833C: 7EE44172
	v_exp_f32_e32 v115, v115                                   // 000000008340: 7EE64173
	v_exp_f32_e32 v116, v116                                   // 000000008344: 7EE84174
	v_exp_f32_e32 v117, v117                                   // 000000008348: 7EEA4175
	v_exp_f32_e32 v118, v118                                   // 00000000834C: 7EEC4176
	v_exp_f32_e32 v119, v119                                   // 000000008350: 7EEE4177
	v_exp_f32_e32 v120, v120                                   // 000000008354: 7EF04178
	v_exp_f32_e32 v121, v121                                   // 000000008358: 7EF24179
	v_exp_f32_e32 v122, v122                                   // 00000000835C: 7EF4417A
	v_exp_f32_e32 v123, v123                                   // 000000008360: 7EF6417B
	v_exp_f32_e32 v124, v124                                   // 000000008364: 7EF8417C
	v_exp_f32_e32 v125, v125                                   // 000000008368: 7EFA417D
	v_exp_f32_e32 v126, v126                                   // 00000000836C: 7EFC417E
	v_exp_f32_e32 v127, v127                                   // 000000008370: 7EFE417F
	buffer_load_dwordx4 a[132:135], v193, s[20:23], 0 offen    // 000000008374: E05C1000 808584C1
	v_mul_f32_e32 v43, v51, v43                                // 00000000837C: 0A565733
	v_mov_b32_e32 v45, v112                                    // 000000008380: 7E5A0370
	v_add_f32_e32 v45, v113, v45                               // 000000008384: 025A5B71
	v_add_f32_e32 v45, v114, v45                               // 000000008388: 025A5B72
	v_add_f32_e32 v45, v115, v45                               // 00000000838C: 025A5B73
	v_add_f32_e32 v45, v116, v45                               // 000000008390: 025A5B74
	v_add_f32_e32 v45, v117, v45                               // 000000008394: 025A5B75
	v_add_f32_e32 v45, v118, v45                               // 000000008398: 025A5B76
	v_add_f32_e32 v45, v119, v45                               // 00000000839C: 025A5B77
	v_add_f32_e32 v45, v120, v45                               // 0000000083A0: 025A5B78
	v_add_f32_e32 v45, v121, v45                               // 0000000083A4: 025A5B79
	v_add_f32_e32 v45, v122, v45                               // 0000000083A8: 025A5B7A
	v_add_f32_e32 v45, v123, v45                               // 0000000083AC: 025A5B7B
	v_add_f32_e32 v45, v124, v45                               // 0000000083B0: 025A5B7C
	v_add_f32_e32 v45, v125, v45                               // 0000000083B4: 025A5B7D
	v_add_f32_e32 v45, v126, v45                               // 0000000083B8: 025A5B7E
	v_add_f32_e32 v45, v127, v45                               // 0000000083BC: 025A5B7F
	v_add_f32_e32 v43, v45, v43                                // 0000000083C0: 0256572D
	buffer_load_dwordx4 a[136:139], v194, s[20:23], 0 offen    // 0000000083C4: E05C1000 808588C2
	v_cmp_u_f32_e64 s[40:41], v112, v112                       // 0000000083CC: D0480028 0002E170
	v_add3_u32 v19, v112, v22, 1                               // 0000000083D4: D1FF0013 02062D70
	v_cndmask_b32_e64 v39, v19, v21, s[40:41]                  // 0000000083DC: D1000027 00A22B13
	v_cmp_u_f32_e64 s[40:41], v113, v113                       // 0000000083E4: D0480028 0002E371
	v_add3_u32 v19, v113, v22, 1                               // 0000000083EC: D1FF0013 02062D71
	v_cndmask_b32_e64 v40, v19, v21, s[40:41]                  // 0000000083F4: D1000028 00A22B13
	v_perm_b32 v112, v40, v39, s52                             // 0000000083FC: D1ED0070 00D24F28
	v_cmp_u_f32_e64 s[40:41], v114, v114                       // 000000008404: D0480028 0002E572
	v_add3_u32 v19, v114, v22, 1                               // 00000000840C: D1FF0013 02062D72
	v_cndmask_b32_e64 v39, v19, v21, s[40:41]                  // 000000008414: D1000027 00A22B13
	v_cmp_u_f32_e64 s[40:41], v115, v115                       // 00000000841C: D0480028 0002E773
	v_add3_u32 v19, v115, v22, 1                               // 000000008424: D1FF0013 02062D73
	v_cndmask_b32_e64 v40, v19, v21, s[40:41]                  // 00000000842C: D1000028 00A22B13
	v_perm_b32 v113, v40, v39, s52                             // 000000008434: D1ED0071 00D24F28
	v_cmp_u_f32_e64 s[40:41], v116, v116                       // 00000000843C: D0480028 0002E974
	v_add3_u32 v19, v116, v22, 1                               // 000000008444: D1FF0013 02062D74
	v_cndmask_b32_e64 v39, v19, v21, s[40:41]                  // 00000000844C: D1000027 00A22B13
	v_cmp_u_f32_e64 s[40:41], v117, v117                       // 000000008454: D0480028 0002EB75
	v_add3_u32 v19, v117, v22, 1                               // 00000000845C: D1FF0013 02062D75
	v_cndmask_b32_e64 v40, v19, v21, s[40:41]                  // 000000008464: D1000028 00A22B13
	v_perm_b32 v114, v40, v39, s52                             // 00000000846C: D1ED0072 00D24F28
	v_cmp_u_f32_e64 s[40:41], v118, v118                       // 000000008474: D0480028 0002ED76
	v_add3_u32 v19, v118, v22, 1                               // 00000000847C: D1FF0013 02062D76
	v_cndmask_b32_e64 v39, v19, v21, s[40:41]                  // 000000008484: D1000027 00A22B13
	v_cmp_u_f32_e64 s[40:41], v119, v119                       // 00000000848C: D0480028 0002EF77
	v_add3_u32 v19, v119, v22, 1                               // 000000008494: D1FF0013 02062D77
	v_cndmask_b32_e64 v40, v19, v21, s[40:41]                  // 00000000849C: D1000028 00A22B13
	v_perm_b32 v115, v40, v39, s52                             // 0000000084A4: D1ED0073 00D24F28
	v_cmp_u_f32_e64 s[40:41], v120, v120                       // 0000000084AC: D0480028 0002F178
	v_add3_u32 v19, v120, v22, 1                               // 0000000084B4: D1FF0013 02062D78
	v_cndmask_b32_e64 v39, v19, v21, s[40:41]                  // 0000000084BC: D1000027 00A22B13
	v_cmp_u_f32_e64 s[40:41], v121, v121                       // 0000000084C4: D0480028 0002F379
	v_add3_u32 v19, v121, v22, 1                               // 0000000084CC: D1FF0013 02062D79
	v_cndmask_b32_e64 v40, v19, v21, s[40:41]                  // 0000000084D4: D1000028 00A22B13
	v_perm_b32 v116, v40, v39, s52                             // 0000000084DC: D1ED0074 00D24F28
	v_cmp_u_f32_e64 s[40:41], v122, v122                       // 0000000084E4: D0480028 0002F57A
	v_add3_u32 v19, v122, v22, 1                               // 0000000084EC: D1FF0013 02062D7A
	v_cndmask_b32_e64 v39, v19, v21, s[40:41]                  // 0000000084F4: D1000027 00A22B13
	v_cmp_u_f32_e64 s[40:41], v123, v123                       // 0000000084FC: D0480028 0002F77B
	v_add3_u32 v19, v123, v22, 1                               // 000000008504: D1FF0013 02062D7B
	v_cndmask_b32_e64 v40, v19, v21, s[40:41]                  // 00000000850C: D1000028 00A22B13
	v_perm_b32 v117, v40, v39, s52                             // 000000008514: D1ED0075 00D24F28
	v_cmp_u_f32_e64 s[40:41], v124, v124                       // 00000000851C: D0480028 0002F97C
	v_add3_u32 v19, v124, v22, 1                               // 000000008524: D1FF0013 02062D7C
	v_cndmask_b32_e64 v39, v19, v21, s[40:41]                  // 00000000852C: D1000027 00A22B13
	v_cmp_u_f32_e64 s[40:41], v125, v125                       // 000000008534: D0480028 0002FB7D
	v_add3_u32 v19, v125, v22, 1                               // 00000000853C: D1FF0013 02062D7D
	v_cndmask_b32_e64 v40, v19, v21, s[40:41]                  // 000000008544: D1000028 00A22B13
	v_perm_b32 v118, v40, v39, s52                             // 00000000854C: D1ED0076 00D24F28
	v_cmp_u_f32_e64 s[40:41], v126, v126                       // 000000008554: D0480028 0002FD7E
	v_add3_u32 v19, v126, v22, 1                               // 00000000855C: D1FF0013 02062D7E
	v_cndmask_b32_e64 v39, v19, v21, s[40:41]                  // 000000008564: D1000027 00A22B13
	v_cmp_u_f32_e64 s[40:41], v127, v127                       // 00000000856C: D0480028 0002FF7F
	v_add3_u32 v19, v127, v22, 1                               // 000000008574: D1FF0013 02062D7F
	v_cndmask_b32_e64 v40, v19, v21, s[40:41]                  // 00000000857C: D1000028 00A22B13
	v_perm_b32 v119, v40, v39, s52                             // 000000008584: D1ED0077 00D24F28
	buffer_load_dwordx4 a[140:143], v195, s[20:23], 0 offen    // 00000000858C: E05C1000 80858CC3
	buffer_load_dwordx4 a[144:147], v196, s[20:23], 0 offen    // 000000008594: E05C1000 808590C4
	ds_write_b64 v13, v[112:113] offset:4096                   // 00000000859C: D89A1000 0000700D
	ds_write_b64 v13, v[114:115] offset:6144                   // 0000000085A4: D89A1800 0000720D
	ds_write_b64 v13, v[116:117] offset:8192                   // 0000000085AC: D89A2000 0000740D
	ds_write_b64 v13, v[118:119] offset:10240                  // 0000000085B4: D89A2800 0000760D
	buffer_load_dwordx4 a[148:151], v197, s[20:23], 0 offen    // 0000000085BC: E05C1000 808594C5
	s_waitcnt lgkmcnt(0)                                       // 0000000085C4: BF8CC07F
	s_barrier                                                  // 0000000085C8: BF8A0000
	ds_read_b64 v[112:113], v12 offset:4096                    // 0000000085CC: D8EC1000 7000000C
	ds_read_b64 v[114:115], v12 offset:4224                    // 0000000085D4: D8EC1080 7200000C
	ds_read_b64 v[116:117], v12 offset:5120                    // 0000000085DC: D8EC1400 7400000C
	ds_read_b64 v[118:119], v12 offset:5248                    // 0000000085E4: D8EC1480 7600000C
	ds_read_b64 v[120:121], v12 offset:6144                    // 0000000085EC: D8EC1800 7800000C
	ds_read_b64 v[122:123], v12 offset:6272                    // 0000000085F4: D8EC1880 7A00000C
	ds_read_b64 v[124:125], v12 offset:7168                    // 0000000085FC: D8EC1C00 7C00000C
	ds_read_b64 v[126:127], v12 offset:7296                    // 000000008604: D8EC1C80 7E00000C
	ds_read_b64 v[128:129], v12 offset:8192                    // 00000000860C: D8EC2000 8000000C
	ds_read_b64 v[130:131], v12 offset:8320                    // 000000008614: D8EC2080 8200000C
	ds_read_b64 v[132:133], v12 offset:9216                    // 00000000861C: D8EC2400 8400000C
	ds_read_b64 v[134:135], v12 offset:9344                    // 000000008624: D8EC2480 8600000C
	ds_read_b64 v[136:137], v12 offset:10240                   // 00000000862C: D8EC2800 8800000C
	ds_read_b64 v[138:139], v12 offset:10368                   // 000000008634: D8EC2880 8A00000C
	ds_read_b64 v[140:141], v12 offset:11264                   // 00000000863C: D8EC2C00 8C00000C
	ds_read_b64 v[142:143], v12 offset:11392                   // 000000008644: D8EC2C80 8E00000C
	buffer_load_dwordx4 a[152:155], v198, s[20:23], 0 offen    // 00000000864C: E05C1000 808598C6
	buffer_load_dwordx4 a[156:159], v199, s[20:23], 0 offen    // 000000008654: E05C1000 80859CC7
	s_waitcnt lgkmcnt(0)                                       // 00000000865C: BF8CC07F
	v_mul_f32_e32 v176, v51, v176                              // 000000008660: 0B616133
	v_mul_f32_e32 v177, v51, v177                              // 000000008664: 0B636333
	v_mul_f32_e32 v178, v51, v178                              // 000000008668: 0B656533
	v_mul_f32_e32 v179, v51, v179                              // 00000000866C: 0B676733
	v_mul_f32_e32 v180, v51, v180                              // 000000008670: 0B696933
	v_mul_f32_e32 v181, v51, v181                              // 000000008674: 0B6B6B33
	v_mul_f32_e32 v182, v51, v182                              // 000000008678: 0B6D6D33
	v_mul_f32_e32 v183, v51, v183                              // 00000000867C: 0B6F6F33
	s_waitcnt vmcnt(24)                                        // 000000008680: BF8C4F78
	v_mfma_f32_16x16x16_bf16 v[176:179], a[192:193], v[112:113], v[176:179]// 000000008684: D3E100B0 0EC2E1C0
	buffer_load_dwordx4 a[160:163], v192, s[20:23], 0 offen offset:1024// 00000000868C: E05C1400 8085A0C0
	v_mfma_f32_16x16x16_bf16 v[176:179], a[194:195], v[114:115], v[176:179]// 000000008694: D3E100B0 0EC2E5C2
	v_mfma_f32_16x16x16_bf16 v[176:179], a[196:197], v[116:117], v[176:179]// 00000000869C: D3E100B0 0EC2E9C4
	v_mfma_f32_16x16x16_bf16 v[176:179], a[198:199], v[118:119], v[176:179]// 0000000086A4: D3E100B0 0EC2EDC6
	v_mfma_f32_16x16x16_bf16 v[176:179], a[200:201], v[120:121], v[176:179]// 0000000086AC: D3E100B0 0EC2F1C8
	buffer_load_dwordx4 a[164:167], v193, s[20:23], 0 offen offset:1024// 0000000086B4: E05C1400 8085A4C1
	v_mfma_f32_16x16x16_bf16 v[176:179], a[202:203], v[122:123], v[176:179]// 0000000086BC: D3E100B0 0EC2F5CA
	v_mfma_f32_16x16x16_bf16 v[176:179], a[204:205], v[124:125], v[176:179]// 0000000086C4: D3E100B0 0EC2F9CC
	v_mfma_f32_16x16x16_bf16 v[176:179], a[206:207], v[126:127], v[176:179]// 0000000086CC: D3E100B0 0EC2FDCE
	v_mfma_f32_16x16x16_bf16 v[176:179], a[208:209], v[128:129], v[176:179]// 0000000086D4: D3E100B0 0EC301D0
	buffer_load_dwordx4 a[168:171], v194, s[20:23], 0 offen offset:1024// 0000000086DC: E05C1400 8085A8C2
	v_mfma_f32_16x16x16_bf16 v[176:179], a[210:211], v[130:131], v[176:179]// 0000000086E4: D3E100B0 0EC305D2
	v_mfma_f32_16x16x16_bf16 v[176:179], a[212:213], v[132:133], v[176:179]// 0000000086EC: D3E100B0 0EC309D4
	v_mfma_f32_16x16x16_bf16 v[176:179], a[214:215], v[134:135], v[176:179]// 0000000086F4: D3E100B0 0EC30DD6
	v_mfma_f32_16x16x16_bf16 v[176:179], a[216:217], v[136:137], v[176:179]// 0000000086FC: D3E100B0 0EC311D8
	buffer_load_dwordx4 a[172:175], v195, s[20:23], 0 offen offset:1024// 000000008704: E05C1400 8085ACC3
	v_mfma_f32_16x16x16_bf16 v[176:179], a[218:219], v[138:139], v[176:179]// 00000000870C: D3E100B0 0EC315DA
	v_mfma_f32_16x16x16_bf16 v[176:179], a[220:221], v[140:141], v[176:179]// 000000008714: D3E100B0 0EC319DC
	v_mfma_f32_16x16x16_bf16 v[176:179], a[222:223], v[142:143], v[176:179]// 00000000871C: D3E100B0 0EC31DDE
	v_mfma_f32_16x16x16_bf16 v[180:183], a[224:225], v[112:113], v[180:183]// 000000008724: D3E100B4 0ED2E1E0
	buffer_load_dwordx4 a[176:179], v196, s[20:23], 0 offen offset:1024// 00000000872C: E05C1400 8085B0C4
	v_mfma_f32_16x16x16_bf16 v[180:183], a[226:227], v[114:115], v[180:183]// 000000008734: D3E100B4 0ED2E5E2
	v_mfma_f32_16x16x16_bf16 v[180:183], a[228:229], v[116:117], v[180:183]// 00000000873C: D3E100B4 0ED2E9E4
	v_mfma_f32_16x16x16_bf16 v[180:183], a[230:231], v[118:119], v[180:183]// 000000008744: D3E100B4 0ED2EDE6
	v_mfma_f32_16x16x16_bf16 v[180:183], a[232:233], v[120:121], v[180:183]// 00000000874C: D3E100B4 0ED2F1E8
	buffer_load_dwordx4 a[180:183], v197, s[20:23], 0 offen offset:1024// 000000008754: E05C1400 8085B4C5
	v_mfma_f32_16x16x16_bf16 v[180:183], a[234:235], v[122:123], v[180:183]// 00000000875C: D3E100B4 0ED2F5EA
	v_mfma_f32_16x16x16_bf16 v[180:183], a[236:237], v[124:125], v[180:183]// 000000008764: D3E100B4 0ED2F9EC
	v_mfma_f32_16x16x16_bf16 v[180:183], a[238:239], v[126:127], v[180:183]// 00000000876C: D3E100B4 0ED2FDEE
	v_mfma_f32_16x16x16_bf16 v[180:183], a[240:241], v[128:129], v[180:183]// 000000008774: D3E100B4 0ED301F0
	buffer_load_dwordx4 a[184:187], v198, s[20:23], 0 offen offset:1024// 00000000877C: E05C1400 8085B8C6
	v_mfma_f32_16x16x16_bf16 v[180:183], a[242:243], v[130:131], v[180:183]// 000000008784: D3E100B4 0ED305F2
	v_mfma_f32_16x16x16_bf16 v[180:183], a[244:245], v[132:133], v[180:183]// 00000000878C: D3E100B4 0ED309F4
	v_mfma_f32_16x16x16_bf16 v[180:183], a[246:247], v[134:135], v[180:183]// 000000008794: D3E100B4 0ED30DF6
	v_mfma_f32_16x16x16_bf16 v[180:183], a[248:249], v[136:137], v[180:183]// 00000000879C: D3E100B4 0ED311F8
	buffer_load_dwordx4 a[188:191], v199, s[20:23], 0 offen offset:1024// 0000000087A4: E05C1400 8085BCC7
	v_mfma_f32_16x16x16_bf16 v[180:183], a[250:251], v[138:139], v[180:183]// 0000000087AC: D3E100B4 0ED315FA
	v_mfma_f32_16x16x16_bf16 v[180:183], a[252:253], v[140:141], v[180:183]// 0000000087B4: D3E100B4 0ED319FC
	v_mfma_f32_16x16x16_bf16 v[180:183], a[254:255], v[142:143], v[180:183]// 0000000087BC: D3E100B4 0ED31DFE
	s_lshr_b32 s60, s70, 4                                     // 0000000087C4: 8F3C8446
	s_add_u32 s60, 48, s60                                     // 0000000087C8: 803C3CB0
	s_cmp_ge_u32 s60, s73                                      // 0000000087CC: BF09493C
	s_cselect_b32 s56, 0, s56                                  // 0000000087D0: 85383880
	v_mul_u32_u24_dpp v39, v18, v54 row_newbcast:0 row_mask:0xf bank_mask:0xf// 0000000087D4: 104E6CFA FF015012
	v_mul_u32_u24_dpp v40, v18, v54 row_newbcast:4 row_mask:0xf bank_mask:0xf// 0000000087DC: 10506CFA FF015412
	v_mul_u32_u24_dpp v41, v18, v54 row_newbcast:8 row_mask:0xf bank_mask:0xf// 0000000087E4: 10526CFA FF015812
	v_mul_u32_u24_dpp v42, v18, v54 row_newbcast:12 row_mask:0xf bank_mask:0xf// 0000000087EC: 10546CFA FF015C12
	v_add_u32_e32 v27, v39, v6                                 // 0000000087F4: 68360D27
	v_add_u32_e32 v28, v40, v6                                 // 0000000087F8: 68380D28
	v_add_u32_e32 v29, v41, v6                                 // 0000000087FC: 683A0D29
	v_add_u32_e32 v30, v42, v6                                 // 000000008800: 683C0D2A
	v_mul_u32_u24_dpp v39, v18, v54 row_newbcast:1 row_mask:0xf bank_mask:0xf// 000000008804: 104E6CFA FF015112
	v_mul_u32_u24_dpp v40, v18, v54 row_newbcast:2 row_mask:0xf bank_mask:0xf// 00000000880C: 10506CFA FF015212
	v_mul_u32_u24_dpp v41, v18, v54 row_newbcast:5 row_mask:0xf bank_mask:0xf// 000000008814: 10526CFA FF015512
	v_mul_u32_u24_dpp v42, v18, v54 row_newbcast:6 row_mask:0xf bank_mask:0xf// 00000000881C: 10546CFA FF015612
	v_add_u32_e32 v200, v39, v7                                // 000000008824: 69900F27
	v_add_u32_e32 v201, v40, v7                                // 000000008828: 69920F28
	v_add_u32_e32 v202, v41, v7                                // 00000000882C: 69940F29
	v_add_u32_e32 v203, v42, v7                                // 000000008830: 69960F2A
	v_mul_u32_u24_dpp v39, v18, v54 row_newbcast:9 row_mask:0xf bank_mask:0xf// 000000008834: 104E6CFA FF015912
	v_mul_u32_u24_dpp v40, v18, v54 row_newbcast:10 row_mask:0xf bank_mask:0xf// 00000000883C: 10506CFA FF015A12
	v_mul_u32_u24_dpp v41, v18, v54 row_newbcast:13 row_mask:0xf bank_mask:0xf// 000000008844: 10526CFA FF015D12
	v_mul_u32_u24_dpp v42, v18, v54 row_newbcast:7 row_mask:0xf bank_mask:0xf// 00000000884C: 10546CFA FF015712
	v_add_u32_e32 v204, v39, v7                                // 000000008854: 69980F27
	v_add_u32_e32 v205, v40, v7                                // 000000008858: 699A0F28
	v_add_u32_e32 v206, v41, v7                                // 00000000885C: 699C0F29
	v_add_u32_e32 v207, v42, v7                                // 000000008860: 699E0F2A
	v_add_u32_e32 v1, s56, v1                                  // 000000008864: 68020238
	s_addk_i32 s70, 0x100                                      // 000000008868: B7460100
	s_cmp_lt_i32 s70, s71                                      // 00000000886C: BF044746
	s_cbranch_scc0 label_154D                                  // 000000008870: BF84FBAF
	s_branch label_1550                                        // 000000008874: BF82FBB1

0000000000008878 <label_199F>:
	s_lshr_b32 s60, s71, 4                                     // 000000008878: 8F3C8447
	s_cmp_eq_i32 s60, s73                                      // 00000000887C: BF00493C
	s_cbranch_scc1 label_1DF8                                  // 000000008880: BF850456

0000000000008884 <label_19A2>:
	s_lshr_b32 s60, s71, 8                                     // 000000008884: 8F3C8847
	s_and_b32 s60, s60, 1                                      // 000000008888: 863C813C
	s_cmp_eq_i32 s60, 1                                        // 00000000888C: BF00813C
	s_cbranch_scc1 label_1BCF                                  // 000000008890: BF850229
	s_waitcnt vmcnt(16) lgkmcnt(0)                             // 000000008894: BF8C4070
	s_barrier                                                  // 000000008898: BF8A0000
	v_mfma_f32_16x16x16_bf16 v[112:115], a[0:1], v[80:81], 0   // 00000000889C: D3E10070 0A02A100
	v_mfma_f32_16x16x16_bf16 v[112:115], a[2:3], v[82:83], v[112:115]// 0000000088A4: D3E10070 0DC2A502
	v_mfma_f32_16x16x16_bf16 v[112:115], a[4:5], v[84:85], v[112:115]// 0000000088AC: D3E10070 0DC2A904
	v_mfma_f32_16x16x16_bf16 v[112:115], a[6:7], v[86:87], v[112:115]// 0000000088B4: D3E10070 0DC2AD06
	v_mfma_f32_16x16x16_bf16 v[112:115], a[8:9], v[88:89], v[112:115]// 0000000088BC: D3E10070 0DC2B108
	v_mfma_f32_16x16x16_bf16 v[112:115], a[10:11], v[90:91], v[112:115]// 0000000088C4: D3E10070 0DC2B50A
	v_mfma_f32_16x16x16_bf16 v[112:115], a[12:13], v[92:93], v[112:115]// 0000000088CC: D3E10070 0DC2B90C
	v_mfma_f32_16x16x16_bf16 v[112:115], a[14:15], v[94:95], v[112:115]// 0000000088D4: D3E10070 0DC2BD0E
	v_mfma_f32_16x16x16_bf16 v[116:119], a[16:17], v[80:81], 0 // 0000000088DC: D3E10074 0A02A110
	v_mfma_f32_16x16x16_bf16 v[116:119], a[18:19], v[82:83], v[116:119]// 0000000088E4: D3E10074 0DD2A512
	v_mfma_f32_16x16x16_bf16 v[116:119], a[20:21], v[84:85], v[116:119]// 0000000088EC: D3E10074 0DD2A914
	v_mfma_f32_16x16x16_bf16 v[116:119], a[22:23], v[86:87], v[116:119]// 0000000088F4: D3E10074 0DD2AD16
	v_mfma_f32_16x16x16_bf16 v[116:119], a[24:25], v[88:89], v[116:119]// 0000000088FC: D3E10074 0DD2B118
	v_mfma_f32_16x16x16_bf16 v[116:119], a[26:27], v[90:91], v[116:119]// 000000008904: D3E10074 0DD2B51A
	v_mfma_f32_16x16x16_bf16 v[116:119], a[28:29], v[92:93], v[116:119]// 00000000890C: D3E10074 0DD2B91C
	v_mfma_f32_16x16x16_bf16 v[116:119], a[30:31], v[94:95], v[116:119]// 000000008914: D3E10074 0DD2BD1E
	v_mfma_f32_16x16x16_bf16 v[120:123], a[32:33], v[80:81], 0 // 00000000891C: D3E10078 0A02A120
	v_mfma_f32_16x16x16_bf16 v[120:123], a[34:35], v[82:83], v[120:123]// 000000008924: D3E10078 0DE2A522
	v_mfma_f32_16x16x16_bf16 v[120:123], a[36:37], v[84:85], v[120:123]// 00000000892C: D3E10078 0DE2A924
	v_mfma_f32_16x16x16_bf16 v[120:123], a[38:39], v[86:87], v[120:123]// 000000008934: D3E10078 0DE2AD26
	v_mfma_f32_16x16x16_bf16 v[120:123], a[40:41], v[88:89], v[120:123]// 00000000893C: D3E10078 0DE2B128
	v_mfma_f32_16x16x16_bf16 v[120:123], a[42:43], v[90:91], v[120:123]// 000000008944: D3E10078 0DE2B52A
	v_mfma_f32_16x16x16_bf16 v[120:123], a[44:45], v[92:93], v[120:123]// 00000000894C: D3E10078 0DE2B92C
	v_mfma_f32_16x16x16_bf16 v[120:123], a[46:47], v[94:95], v[120:123]// 000000008954: D3E10078 0DE2BD2E
	v_mfma_f32_16x16x16_bf16 v[124:127], a[48:49], v[80:81], 0 // 00000000895C: D3E1007C 0A02A130
	v_mfma_f32_16x16x16_bf16 v[124:127], a[50:51], v[82:83], v[124:127]// 000000008964: D3E1007C 0DF2A532
	v_mfma_f32_16x16x16_bf16 v[124:127], a[52:53], v[84:85], v[124:127]// 00000000896C: D3E1007C 0DF2A934
	v_mfma_f32_16x16x16_bf16 v[124:127], a[54:55], v[86:87], v[124:127]// 000000008974: D3E1007C 0DF2AD36
	v_mfma_f32_16x16x16_bf16 v[124:127], a[56:57], v[88:89], v[124:127]// 00000000897C: D3E1007C 0DF2B138
	v_mfma_f32_16x16x16_bf16 v[124:127], a[58:59], v[90:91], v[124:127]// 000000008984: D3E1007C 0DF2B53A
	v_mfma_f32_16x16x16_bf16 v[124:127], a[60:61], v[92:93], v[124:127]// 00000000898C: D3E1007C 0DF2B93C
	v_mfma_f32_16x16x16_bf16 v[124:127], a[62:63], v[94:95], v[124:127]// 000000008994: D3E1007C 0DF2BD3E
	s_nop 8                                                    // 00000000899C: BF800008
	s_and_b32 s60, s72, 0xff                                   // 0000000089A0: 863CFF48 000000FF
	v_mov_b32_e32 v56, s60                                     // 0000000089A8: 7E70023C
	v_lshrrev_b32_e32 v31, 4, v0                               // 0000000089AC: 203E0084
	v_mul_i32_i24_e32 v31, 4, v31                              // 0000000089B0: 0C3E3E84
	s_mul_i32 s60, s7, 16                                      // 0000000089B4: 923C9007
	v_add_u32_e32 v31, s60, v31                                // 0000000089B8: 683E3E3C
	v_add_u32_e32 v32, 1, v31                                  // 0000000089BC: 68403E81
	v_add_u32_e32 v33, 2, v31                                  // 0000000089C0: 68423E82
	v_add_u32_e32 v34, 3, v31                                  // 0000000089C4: 68443E83
	v_mov_b32_e32 v39, v55                                     // 0000000089C8: 7E4E0337
	v_cmp_lt_u32_e64 s[40:41], v31, v56                        // 0000000089CC: D0C90028 0002711F
	v_add_u32_e32 v31, 64, v31                                 // 0000000089D4: 683E3EC0
	s_nop 0                                                    // 0000000089D8: BF800000
	v_cndmask_b32_e64 v112, v39, v112, s[40:41]                // 0000000089DC: D1000070 00A2E127
	v_cmp_lt_u32_e64 s[40:41], v32, v56                        // 0000000089E4: D0C90028 00027120
	v_add_u32_e32 v32, 64, v32                                 // 0000000089EC: 684040C0
	s_nop 0                                                    // 0000000089F0: BF800000
	v_cndmask_b32_e64 v113, v39, v113, s[40:41]                // 0000000089F4: D1000071 00A2E327
	v_cmp_lt_u32_e64 s[40:41], v33, v56                        // 0000000089FC: D0C90028 00027121
	v_add_u32_e32 v33, 64, v33                                 // 000000008A04: 684242C0
	s_nop 0                                                    // 000000008A08: BF800000
	v_cndmask_b32_e64 v114, v39, v114, s[40:41]                // 000000008A0C: D1000072 00A2E527
	v_cmp_lt_u32_e64 s[40:41], v34, v56                        // 000000008A14: D0C90028 00027122
	v_add_u32_e32 v34, 64, v34                                 // 000000008A1C: 684444C0
	s_nop 0                                                    // 000000008A20: BF800000
	v_cndmask_b32_e64 v115, v39, v115, s[40:41]                // 000000008A24: D1000073 00A2E727
	v_cmp_lt_u32_e64 s[40:41], v31, v56                        // 000000008A2C: D0C90028 0002711F
	v_add_u32_e32 v31, 64, v31                                 // 000000008A34: 683E3EC0
	s_nop 0                                                    // 000000008A38: BF800000
	v_cndmask_b32_e64 v116, v39, v116, s[40:41]                // 000000008A3C: D1000074 00A2E927
	v_cmp_lt_u32_e64 s[40:41], v32, v56                        // 000000008A44: D0C90028 00027120
	v_add_u32_e32 v32, 64, v32                                 // 000000008A4C: 684040C0
	s_nop 0                                                    // 000000008A50: BF800000
	v_cndmask_b32_e64 v117, v39, v117, s[40:41]                // 000000008A54: D1000075 00A2EB27
	v_cmp_lt_u32_e64 s[40:41], v33, v56                        // 000000008A5C: D0C90028 00027121
	v_add_u32_e32 v33, 64, v33                                 // 000000008A64: 684242C0
	s_nop 0                                                    // 000000008A68: BF800000
	v_cndmask_b32_e64 v118, v39, v118, s[40:41]                // 000000008A6C: D1000076 00A2ED27
	v_cmp_lt_u32_e64 s[40:41], v34, v56                        // 000000008A74: D0C90028 00027122
	v_add_u32_e32 v34, 64, v34                                 // 000000008A7C: 684444C0
	s_nop 0                                                    // 000000008A80: BF800000
	v_cndmask_b32_e64 v119, v39, v119, s[40:41]                // 000000008A84: D1000077 00A2EF27
	v_cmp_lt_u32_e64 s[40:41], v31, v56                        // 000000008A8C: D0C90028 0002711F
	v_add_u32_e32 v31, 64, v31                                 // 000000008A94: 683E3EC0
	s_nop 0                                                    // 000000008A98: BF800000
	v_cndmask_b32_e64 v120, v39, v120, s[40:41]                // 000000008A9C: D1000078 00A2F127
	v_cmp_lt_u32_e64 s[40:41], v32, v56                        // 000000008AA4: D0C90028 00027120
	v_add_u32_e32 v32, 64, v32                                 // 000000008AAC: 684040C0
	s_nop 0                                                    // 000000008AB0: BF800000
	v_cndmask_b32_e64 v121, v39, v121, s[40:41]                // 000000008AB4: D1000079 00A2F327
	v_cmp_lt_u32_e64 s[40:41], v33, v56                        // 000000008ABC: D0C90028 00027121
	v_add_u32_e32 v33, 64, v33                                 // 000000008AC4: 684242C0
	s_nop 0                                                    // 000000008AC8: BF800000
	v_cndmask_b32_e64 v122, v39, v122, s[40:41]                // 000000008ACC: D100007A 00A2F527
	v_cmp_lt_u32_e64 s[40:41], v34, v56                        // 000000008AD4: D0C90028 00027122
	v_add_u32_e32 v34, 64, v34                                 // 000000008ADC: 684444C0
	s_nop 0                                                    // 000000008AE0: BF800000
	v_cndmask_b32_e64 v123, v39, v123, s[40:41]                // 000000008AE4: D100007B 00A2F727
	v_cmp_lt_u32_e64 s[40:41], v31, v56                        // 000000008AEC: D0C90028 0002711F
	v_add_u32_e32 v31, 64, v31                                 // 000000008AF4: 683E3EC0
	s_nop 0                                                    // 000000008AF8: BF800000
	v_cndmask_b32_e64 v124, v39, v124, s[40:41]                // 000000008AFC: D100007C 00A2F927
	v_cmp_lt_u32_e64 s[40:41], v32, v56                        // 000000008B04: D0C90028 00027120
	v_add_u32_e32 v32, 64, v32                                 // 000000008B0C: 684040C0
	s_nop 0                                                    // 000000008B10: BF800000
	v_cndmask_b32_e64 v125, v39, v125, s[40:41]                // 000000008B14: D100007D 00A2FB27
	v_cmp_lt_u32_e64 s[40:41], v33, v56                        // 000000008B1C: D0C90028 00027121
	v_add_u32_e32 v33, 64, v33                                 // 000000008B24: 684242C0
	s_nop 0                                                    // 000000008B28: BF800000
	v_cndmask_b32_e64 v126, v39, v126, s[40:41]                // 000000008B2C: D100007E 00A2FD27
	v_cmp_lt_u32_e64 s[40:41], v34, v56                        // 000000008B34: D0C90028 00027122
	v_add_u32_e32 v34, 64, v34                                 // 000000008B3C: 684444C0
	s_nop 0                                                    // 000000008B40: BF800000
	v_cndmask_b32_e64 v127, v39, v127, s[40:41]                // 000000008B44: D100007F 00A2FF27
	s_nop 8                                                    // 000000008B4C: BF800008
	v_mov_b32_e32 v50, v112                                    // 000000008B50: 7E640370
	v_max3_f32 v50, v112, v113, v50                            // 000000008B54: D1D30032 04CAE370
	v_max3_f32 v50, v114, v115, v50                            // 000000008B5C: D1D30032 04CAE772
	v_max3_f32 v50, v116, v117, v50                            // 000000008B64: D1D30032 04CAEB74
	v_max3_f32 v50, v118, v119, v50                            // 000000008B6C: D1D30032 04CAEF76
	v_max3_f32 v50, v120, v121, v50                            // 000000008B74: D1D30032 04CAF378
	v_max3_f32 v50, v122, v123, v50                            // 000000008B7C: D1D30032 04CAF77A
	v_max3_f32 v50, v124, v125, v50                            // 000000008B84: D1D30032 04CAFB7C
	v_max3_f32 v50, v126, v127, v50                            // 000000008B8C: D1D30032 04CAFF7E
	ds_write_b32 v11, v50                                      // 000000008B94: D81A0000 0000320B
	s_waitcnt lgkmcnt(0)                                       // 000000008B9C: BF8CC07F
	s_barrier                                                  // 000000008BA0: BF8A0000
	ds_read_b32 v64, v10                                       // 000000008BA4: D86C0000 4000000A
	ds_read_b32 v65, v10 offset:64                             // 000000008BAC: D86C0040 4100000A
	ds_read_b32 v66, v10 offset:128                            // 000000008BB4: D86C0080 4200000A
	ds_read_b32 v67, v10 offset:192                            // 000000008BBC: D86C00C0 4300000A
	ds_read_b32 v68, v10 offset:256                            // 000000008BC4: D86C0100 4400000A
	ds_read_b32 v69, v10 offset:320                            // 000000008BCC: D86C0140 4500000A
	ds_read_b32 v70, v10 offset:384                            // 000000008BD4: D86C0180 4600000A
	ds_read_b32 v71, v10 offset:448                            // 000000008BDC: D86C01C0 4700000A
	ds_read_b32 v72, v10 offset:512                            // 000000008BE4: D86C0200 4800000A
	ds_read_b32 v73, v10 offset:576                            // 000000008BEC: D86C0240 4900000A
	ds_read_b32 v74, v10 offset:640                            // 000000008BF4: D86C0280 4A00000A
	ds_read_b32 v75, v10 offset:704                            // 000000008BFC: D86C02C0 4B00000A
	ds_read_b32 v76, v10 offset:768                            // 000000008C04: D86C0300 4C00000A
	ds_read_b32 v77, v10 offset:832                            // 000000008C0C: D86C0340 4D00000A
	ds_read_b32 v78, v10 offset:896                            // 000000008C14: D86C0380 4E00000A
	ds_read_b32 v79, v10 offset:960                            // 000000008C1C: D86C03C0 4F00000A
	s_waitcnt lgkmcnt(0)                                       // 000000008C24: BF8CC07F
	v_max3_f32 v50, v64, v65, v50                              // 000000008C28: D1D30032 04CA8340
	v_max3_f32 v50, v66, v67, v50                              // 000000008C30: D1D30032 04CA8742
	v_max3_f32 v50, v68, v69, v50                              // 000000008C38: D1D30032 04CA8B44
	v_max3_f32 v50, v70, v71, v50                              // 000000008C40: D1D30032 04CA8F46
	v_max3_f32 v50, v72, v73, v50                              // 000000008C48: D1D30032 04CA9348
	v_max3_f32 v50, v74, v75, v50                              // 000000008C50: D1D30032 04CA974A
	v_max3_f32 v50, v76, v77, v50                              // 000000008C58: D1D30032 04CA9B4C
	v_max3_f32 v50, v78, v79, v50                              // 000000008C60: D1D30032 04CA9F4E
	v_cmp_eq_u32_e64 s[40:41], v55, v14                        // 000000008C68: D0CA0028 00021D37
	s_nop 1                                                    // 000000008C70: BF800001
	v_max_f32_e32 v16, v50, v14                                // 000000008C74: 16201D32
	v_sub_f32_e32 v51, v14, v16                                // 000000008C78: 0466210E
	v_cndmask_b32_e64 v51, v51, 0, s[40:41]                    // 000000008C7C: D1000033 00A10133
	v_mov_b32_e32 v14, v16                                     // 000000008C84: 7E1C0310
	v_mul_f32_e32 v53, s64, v16                                // 000000008C88: 0A6A2040
	v_mul_f32_e32 v51, s64, v51                                // 000000008C8C: 0A666640
	v_exp_f32_e32 v51, v51                                     // 000000008C90: 7E664133
	v_fma_f32 v112, v112, s64, -v53                            // 000000008C94: D1CB0070 84D48170
	v_fma_f32 v113, v113, s64, -v53                            // 000000008C9C: D1CB0071 84D48171
	v_fma_f32 v114, v114, s64, -v53                            // 000000008CA4: D1CB0072 84D48172
	v_fma_f32 v115, v115, s64, -v53                            // 000000008CAC: D1CB0073 84D48173
	v_fma_f32 v116, v116, s64, -v53                            // 000000008CB4: D1CB0074 84D48174
	v_fma_f32 v117, v117, s64, -v53                            // 000000008CBC: D1CB0075 84D48175
	v_fma_f32 v118, v118, s64, -v53                            // 000000008CC4: D1CB0076 84D48176
	v_fma_f32 v119, v119, s64, -v53                            // 000000008CCC: D1CB0077 84D48177
	v_fma_f32 v120, v120, s64, -v53                            // 000000008CD4: D1CB0078 84D48178
	v_fma_f32 v121, v121, s64, -v53                            // 000000008CDC: D1CB0079 84D48179
	v_fma_f32 v122, v122, s64, -v53                            // 000000008CE4: D1CB007A 84D4817A
	v_fma_f32 v123, v123, s64, -v53                            // 000000008CEC: D1CB007B 84D4817B
	v_fma_f32 v124, v124, s64, -v53                            // 000000008CF4: D1CB007C 84D4817C
	v_fma_f32 v125, v125, s64, -v53                            // 000000008CFC: D1CB007D 84D4817D
	v_fma_f32 v126, v126, s64, -v53                            // 000000008D04: D1CB007E 84D4817E
	v_fma_f32 v127, v127, s64, -v53                            // 000000008D0C: D1CB007F 84D4817F
	v_exp_f32_e32 v112, v112                                   // 000000008D14: 7EE04170
	v_exp_f32_e32 v113, v113                                   // 000000008D18: 7EE24171
	v_exp_f32_e32 v114, v114                                   // 000000008D1C: 7EE44172
	v_exp_f32_e32 v115, v115                                   // 000000008D20: 7EE64173
	v_exp_f32_e32 v116, v116                                   // 000000008D24: 7EE84174
	v_exp_f32_e32 v117, v117                                   // 000000008D28: 7EEA4175
	v_exp_f32_e32 v118, v118                                   // 000000008D2C: 7EEC4176
	v_exp_f32_e32 v119, v119                                   // 000000008D30: 7EEE4177
	v_exp_f32_e32 v120, v120                                   // 000000008D34: 7EF04178
	v_exp_f32_e32 v121, v121                                   // 000000008D38: 7EF24179
	v_exp_f32_e32 v122, v122                                   // 000000008D3C: 7EF4417A
	v_exp_f32_e32 v123, v123                                   // 000000008D40: 7EF6417B
	v_exp_f32_e32 v124, v124                                   // 000000008D44: 7EF8417C
	v_exp_f32_e32 v125, v125                                   // 000000008D48: 7EFA417D
	v_exp_f32_e32 v126, v126                                   // 000000008D4C: 7EFC417E
	v_exp_f32_e32 v127, v127                                   // 000000008D50: 7EFE417F
	v_mul_f32_e32 v43, v51, v43                                // 000000008D54: 0A565733
	v_mov_b32_e32 v45, v112                                    // 000000008D58: 7E5A0370
	v_add_f32_e32 v45, v113, v45                               // 000000008D5C: 025A5B71
	v_add_f32_e32 v45, v114, v45                               // 000000008D60: 025A5B72
	v_add_f32_e32 v45, v115, v45                               // 000000008D64: 025A5B73
	v_add_f32_e32 v45, v116, v45                               // 000000008D68: 025A5B74
	v_add_f32_e32 v45, v117, v45                               // 000000008D6C: 025A5B75
	v_add_f32_e32 v45, v118, v45                               // 000000008D70: 025A5B76
	v_add_f32_e32 v45, v119, v45                               // 000000008D74: 025A5B77
	v_add_f32_e32 v45, v120, v45                               // 000000008D78: 025A5B78
	v_add_f32_e32 v45, v121, v45                               // 000000008D7C: 025A5B79
	v_add_f32_e32 v45, v122, v45                               // 000000008D80: 025A5B7A
	v_add_f32_e32 v45, v123, v45                               // 000000008D84: 025A5B7B
	v_add_f32_e32 v45, v124, v45                               // 000000008D88: 025A5B7C
	v_add_f32_e32 v45, v125, v45                               // 000000008D8C: 025A5B7D
	v_add_f32_e32 v45, v126, v45                               // 000000008D90: 025A5B7E
	v_add_f32_e32 v45, v127, v45                               // 000000008D94: 025A5B7F
	v_add_f32_e32 v43, v45, v43                                // 000000008D98: 0256572D
	v_cmp_u_f32_e64 s[40:41], v112, v112                       // 000000008D9C: D0480028 0002E170
	v_add3_u32 v19, v112, v22, 1                               // 000000008DA4: D1FF0013 02062D70
	v_cndmask_b32_e64 v39, v19, v21, s[40:41]                  // 000000008DAC: D1000027 00A22B13
	v_cmp_u_f32_e64 s[40:41], v113, v113                       // 000000008DB4: D0480028 0002E371
	v_add3_u32 v19, v113, v22, 1                               // 000000008DBC: D1FF0013 02062D71
	v_cndmask_b32_e64 v40, v19, v21, s[40:41]                  // 000000008DC4: D1000028 00A22B13
	v_perm_b32 v112, v40, v39, s52                             // 000000008DCC: D1ED0070 00D24F28
	v_cmp_u_f32_e64 s[40:41], v114, v114                       // 000000008DD4: D0480028 0002E572
	v_add3_u32 v19, v114, v22, 1                               // 000000008DDC: D1FF0013 02062D72
	v_cndmask_b32_e64 v39, v19, v21, s[40:41]                  // 000000008DE4: D1000027 00A22B13
	v_cmp_u_f32_e64 s[40:41], v115, v115                       // 000000008DEC: D0480028 0002E773
	v_add3_u32 v19, v115, v22, 1                               // 000000008DF4: D1FF0013 02062D73
	v_cndmask_b32_e64 v40, v19, v21, s[40:41]                  // 000000008DFC: D1000028 00A22B13
	v_perm_b32 v113, v40, v39, s52                             // 000000008E04: D1ED0071 00D24F28
	v_cmp_u_f32_e64 s[40:41], v116, v116                       // 000000008E0C: D0480028 0002E974
	v_add3_u32 v19, v116, v22, 1                               // 000000008E14: D1FF0013 02062D74
	v_cndmask_b32_e64 v39, v19, v21, s[40:41]                  // 000000008E1C: D1000027 00A22B13
	v_cmp_u_f32_e64 s[40:41], v117, v117                       // 000000008E24: D0480028 0002EB75
	v_add3_u32 v19, v117, v22, 1                               // 000000008E2C: D1FF0013 02062D75
	v_cndmask_b32_e64 v40, v19, v21, s[40:41]                  // 000000008E34: D1000028 00A22B13
	v_perm_b32 v114, v40, v39, s52                             // 000000008E3C: D1ED0072 00D24F28
	v_cmp_u_f32_e64 s[40:41], v118, v118                       // 000000008E44: D0480028 0002ED76
	v_add3_u32 v19, v118, v22, 1                               // 000000008E4C: D1FF0013 02062D76
	v_cndmask_b32_e64 v39, v19, v21, s[40:41]                  // 000000008E54: D1000027 00A22B13
	v_cmp_u_f32_e64 s[40:41], v119, v119                       // 000000008E5C: D0480028 0002EF77
	v_add3_u32 v19, v119, v22, 1                               // 000000008E64: D1FF0013 02062D77
	v_cndmask_b32_e64 v40, v19, v21, s[40:41]                  // 000000008E6C: D1000028 00A22B13
	v_perm_b32 v115, v40, v39, s52                             // 000000008E74: D1ED0073 00D24F28
	v_cmp_u_f32_e64 s[40:41], v120, v120                       // 000000008E7C: D0480028 0002F178
	v_add3_u32 v19, v120, v22, 1                               // 000000008E84: D1FF0013 02062D78
	v_cndmask_b32_e64 v39, v19, v21, s[40:41]                  // 000000008E8C: D1000027 00A22B13
	v_cmp_u_f32_e64 s[40:41], v121, v121                       // 000000008E94: D0480028 0002F379
	v_add3_u32 v19, v121, v22, 1                               // 000000008E9C: D1FF0013 02062D79
	v_cndmask_b32_e64 v40, v19, v21, s[40:41]                  // 000000008EA4: D1000028 00A22B13
	v_perm_b32 v116, v40, v39, s52                             // 000000008EAC: D1ED0074 00D24F28
	v_cmp_u_f32_e64 s[40:41], v122, v122                       // 000000008EB4: D0480028 0002F57A
	v_add3_u32 v19, v122, v22, 1                               // 000000008EBC: D1FF0013 02062D7A
	v_cndmask_b32_e64 v39, v19, v21, s[40:41]                  // 000000008EC4: D1000027 00A22B13
	v_cmp_u_f32_e64 s[40:41], v123, v123                       // 000000008ECC: D0480028 0002F77B
	v_add3_u32 v19, v123, v22, 1                               // 000000008ED4: D1FF0013 02062D7B
	v_cndmask_b32_e64 v40, v19, v21, s[40:41]                  // 000000008EDC: D1000028 00A22B13
	v_perm_b32 v117, v40, v39, s52                             // 000000008EE4: D1ED0075 00D24F28
	v_cmp_u_f32_e64 s[40:41], v124, v124                       // 000000008EEC: D0480028 0002F97C
	v_add3_u32 v19, v124, v22, 1                               // 000000008EF4: D1FF0013 02062D7C
	v_cndmask_b32_e64 v39, v19, v21, s[40:41]                  // 000000008EFC: D1000027 00A22B13
	v_cmp_u_f32_e64 s[40:41], v125, v125                       // 000000008F04: D0480028 0002FB7D
	v_add3_u32 v19, v125, v22, 1                               // 000000008F0C: D1FF0013 02062D7D
	v_cndmask_b32_e64 v40, v19, v21, s[40:41]                  // 000000008F14: D1000028 00A22B13
	v_perm_b32 v118, v40, v39, s52                             // 000000008F1C: D1ED0076 00D24F28
	v_cmp_u_f32_e64 s[40:41], v126, v126                       // 000000008F24: D0480028 0002FD7E
	v_add3_u32 v19, v126, v22, 1                               // 000000008F2C: D1FF0013 02062D7E
	v_cndmask_b32_e64 v39, v19, v21, s[40:41]                  // 000000008F34: D1000027 00A22B13
	v_cmp_u_f32_e64 s[40:41], v127, v127                       // 000000008F3C: D0480028 0002FF7F
	v_add3_u32 v19, v127, v22, 1                               // 000000008F44: D1FF0013 02062D7F
	v_cndmask_b32_e64 v40, v19, v21, s[40:41]                  // 000000008F4C: D1000028 00A22B13
	v_perm_b32 v119, v40, v39, s52                             // 000000008F54: D1ED0077 00D24F28
	ds_write_b64 v13, v[112:113] offset:4096                   // 000000008F5C: D89A1000 0000700D
	ds_write_b64 v13, v[114:115] offset:6144                   // 000000008F64: D89A1800 0000720D
	ds_write_b64 v13, v[116:117] offset:8192                   // 000000008F6C: D89A2000 0000740D
	ds_write_b64 v13, v[118:119] offset:10240                  // 000000008F74: D89A2800 0000760D
	s_waitcnt lgkmcnt(0)                                       // 000000008F7C: BF8CC07F
	s_barrier                                                  // 000000008F80: BF8A0000
	ds_read_b64 v[112:113], v12 offset:4096                    // 000000008F84: D8EC1000 7000000C
	ds_read_b64 v[114:115], v12 offset:4224                    // 000000008F8C: D8EC1080 7200000C
	ds_read_b64 v[116:117], v12 offset:5120                    // 000000008F94: D8EC1400 7400000C
	ds_read_b64 v[118:119], v12 offset:5248                    // 000000008F9C: D8EC1480 7600000C
	ds_read_b64 v[120:121], v12 offset:6144                    // 000000008FA4: D8EC1800 7800000C
	ds_read_b64 v[122:123], v12 offset:6272                    // 000000008FAC: D8EC1880 7A00000C
	ds_read_b64 v[124:125], v12 offset:7168                    // 000000008FB4: D8EC1C00 7C00000C
	ds_read_b64 v[126:127], v12 offset:7296                    // 000000008FBC: D8EC1C80 7E00000C
	ds_read_b64 v[128:129], v12 offset:8192                    // 000000008FC4: D8EC2000 8000000C
	ds_read_b64 v[130:131], v12 offset:8320                    // 000000008FCC: D8EC2080 8200000C
	ds_read_b64 v[132:133], v12 offset:9216                    // 000000008FD4: D8EC2400 8400000C
	ds_read_b64 v[134:135], v12 offset:9344                    // 000000008FDC: D8EC2480 8600000C
	ds_read_b64 v[136:137], v12 offset:10240                   // 000000008FE4: D8EC2800 8800000C
	ds_read_b64 v[138:139], v12 offset:10368                   // 000000008FEC: D8EC2880 8A00000C
	ds_read_b64 v[140:141], v12 offset:11264                   // 000000008FF4: D8EC2C00 8C00000C
	ds_read_b64 v[142:143], v12 offset:11392                   // 000000008FFC: D8EC2C80 8E00000C
	s_waitcnt lgkmcnt(0)                                       // 000000009004: BF8CC07F
	v_mul_f32_e32 v176, v51, v176                              // 000000009008: 0B616133
	v_mul_f32_e32 v177, v51, v177                              // 00000000900C: 0B636333
	v_mul_f32_e32 v178, v51, v178                              // 000000009010: 0B656533
	v_mul_f32_e32 v179, v51, v179                              // 000000009014: 0B676733
	v_mul_f32_e32 v180, v51, v180                              // 000000009018: 0B696933
	v_mul_f32_e32 v181, v51, v181                              // 00000000901C: 0B6B6B33
	v_mul_f32_e32 v182, v51, v182                              // 000000009020: 0B6D6D33
	v_mul_f32_e32 v183, v51, v183                              // 000000009024: 0B6F6F33
	s_waitcnt vmcnt(0)                                         // 000000009028: BF8C0F70
	s_barrier                                                  // 00000000902C: BF8A0000
	v_mfma_f32_16x16x16_bf16 v[176:179], a[128:129], v[112:113], v[176:179]// 000000009030: D3E100B0 0EC2E180
	v_mfma_f32_16x16x16_bf16 v[176:179], a[130:131], v[114:115], v[176:179]// 000000009038: D3E100B0 0EC2E582
	v_mfma_f32_16x16x16_bf16 v[176:179], a[132:133], v[116:117], v[176:179]// 000000009040: D3E100B0 0EC2E984
	v_mfma_f32_16x16x16_bf16 v[176:179], a[134:135], v[118:119], v[176:179]// 000000009048: D3E100B0 0EC2ED86
	v_mfma_f32_16x16x16_bf16 v[176:179], a[136:137], v[120:121], v[176:179]// 000000009050: D3E100B0 0EC2F188
	v_mfma_f32_16x16x16_bf16 v[176:179], a[138:139], v[122:123], v[176:179]// 000000009058: D3E100B0 0EC2F58A
	v_mfma_f32_16x16x16_bf16 v[176:179], a[140:141], v[124:125], v[176:179]// 000000009060: D3E100B0 0EC2F98C
	v_mfma_f32_16x16x16_bf16 v[176:179], a[142:143], v[126:127], v[176:179]// 000000009068: D3E100B0 0EC2FD8E
	v_mfma_f32_16x16x16_bf16 v[176:179], a[144:145], v[128:129], v[176:179]// 000000009070: D3E100B0 0EC30190
	v_mfma_f32_16x16x16_bf16 v[176:179], a[146:147], v[130:131], v[176:179]// 000000009078: D3E100B0 0EC30592
	v_mfma_f32_16x16x16_bf16 v[176:179], a[148:149], v[132:133], v[176:179]// 000000009080: D3E100B0 0EC30994
	v_mfma_f32_16x16x16_bf16 v[176:179], a[150:151], v[134:135], v[176:179]// 000000009088: D3E100B0 0EC30D96
	v_mfma_f32_16x16x16_bf16 v[176:179], a[152:153], v[136:137], v[176:179]// 000000009090: D3E100B0 0EC31198
	v_mfma_f32_16x16x16_bf16 v[176:179], a[154:155], v[138:139], v[176:179]// 000000009098: D3E100B0 0EC3159A
	v_mfma_f32_16x16x16_bf16 v[176:179], a[156:157], v[140:141], v[176:179]// 0000000090A0: D3E100B0 0EC3199C
	v_mfma_f32_16x16x16_bf16 v[176:179], a[158:159], v[142:143], v[176:179]// 0000000090A8: D3E100B0 0EC31D9E
	v_mfma_f32_16x16x16_bf16 v[180:183], a[160:161], v[112:113], v[180:183]// 0000000090B0: D3E100B4 0ED2E1A0
	v_mfma_f32_16x16x16_bf16 v[180:183], a[162:163], v[114:115], v[180:183]// 0000000090B8: D3E100B4 0ED2E5A2
	v_mfma_f32_16x16x16_bf16 v[180:183], a[164:165], v[116:117], v[180:183]// 0000000090C0: D3E100B4 0ED2E9A4
	v_mfma_f32_16x16x16_bf16 v[180:183], a[166:167], v[118:119], v[180:183]// 0000000090C8: D3E100B4 0ED2EDA6
	v_mfma_f32_16x16x16_bf16 v[180:183], a[168:169], v[120:121], v[180:183]// 0000000090D0: D3E100B4 0ED2F1A8
	v_mfma_f32_16x16x16_bf16 v[180:183], a[170:171], v[122:123], v[180:183]// 0000000090D8: D3E100B4 0ED2F5AA
	v_mfma_f32_16x16x16_bf16 v[180:183], a[172:173], v[124:125], v[180:183]// 0000000090E0: D3E100B4 0ED2F9AC
	v_mfma_f32_16x16x16_bf16 v[180:183], a[174:175], v[126:127], v[180:183]// 0000000090E8: D3E100B4 0ED2FDAE
	v_mfma_f32_16x16x16_bf16 v[180:183], a[176:177], v[128:129], v[180:183]// 0000000090F0: D3E100B4 0ED301B0
	v_mfma_f32_16x16x16_bf16 v[180:183], a[178:179], v[130:131], v[180:183]// 0000000090F8: D3E100B4 0ED305B2
	v_mfma_f32_16x16x16_bf16 v[180:183], a[180:181], v[132:133], v[180:183]// 000000009100: D3E100B4 0ED309B4
	v_mfma_f32_16x16x16_bf16 v[180:183], a[182:183], v[134:135], v[180:183]// 000000009108: D3E100B4 0ED30DB6
	v_mfma_f32_16x16x16_bf16 v[180:183], a[184:185], v[136:137], v[180:183]// 000000009110: D3E100B4 0ED311B8
	v_mfma_f32_16x16x16_bf16 v[180:183], a[186:187], v[138:139], v[180:183]// 000000009118: D3E100B4 0ED315BA
	v_mfma_f32_16x16x16_bf16 v[180:183], a[188:189], v[140:141], v[180:183]// 000000009120: D3E100B4 0ED319BC
	v_mfma_f32_16x16x16_bf16 v[180:183], a[190:191], v[142:143], v[180:183]// 000000009128: D3E100B4 0ED31DBE
	s_nop 8                                                    // 000000009130: BF800008
	s_branch label_1DF8                                        // 000000009134: BF820229

0000000000009138 <label_1BCF>:
	s_waitcnt vmcnt(16) lgkmcnt(0)                             // 000000009138: BF8C4070
	s_barrier                                                  // 00000000913C: BF8A0000
	v_mfma_f32_16x16x16_bf16 v[112:115], a[64:65], v[80:81], 0 // 000000009140: D3E10070 0A02A140
	v_mfma_f32_16x16x16_bf16 v[112:115], a[66:67], v[82:83], v[112:115]// 000000009148: D3E10070 0DC2A542
	v_mfma_f32_16x16x16_bf16 v[112:115], a[68:69], v[84:85], v[112:115]// 000000009150: D3E10070 0DC2A944
	v_mfma_f32_16x16x16_bf16 v[112:115], a[70:71], v[86:87], v[112:115]// 000000009158: D3E10070 0DC2AD46
	v_mfma_f32_16x16x16_bf16 v[112:115], a[72:73], v[88:89], v[112:115]// 000000009160: D3E10070 0DC2B148
	v_mfma_f32_16x16x16_bf16 v[112:115], a[74:75], v[90:91], v[112:115]// 000000009168: D3E10070 0DC2B54A
	v_mfma_f32_16x16x16_bf16 v[112:115], a[76:77], v[92:93], v[112:115]// 000000009170: D3E10070 0DC2B94C
	v_mfma_f32_16x16x16_bf16 v[112:115], a[78:79], v[94:95], v[112:115]// 000000009178: D3E10070 0DC2BD4E
	v_mfma_f32_16x16x16_bf16 v[116:119], a[80:81], v[80:81], 0 // 000000009180: D3E10074 0A02A150
	v_mfma_f32_16x16x16_bf16 v[116:119], a[82:83], v[82:83], v[116:119]// 000000009188: D3E10074 0DD2A552
	v_mfma_f32_16x16x16_bf16 v[116:119], a[84:85], v[84:85], v[116:119]// 000000009190: D3E10074 0DD2A954
	v_mfma_f32_16x16x16_bf16 v[116:119], a[86:87], v[86:87], v[116:119]// 000000009198: D3E10074 0DD2AD56
	v_mfma_f32_16x16x16_bf16 v[116:119], a[88:89], v[88:89], v[116:119]// 0000000091A0: D3E10074 0DD2B158
	v_mfma_f32_16x16x16_bf16 v[116:119], a[90:91], v[90:91], v[116:119]// 0000000091A8: D3E10074 0DD2B55A
	v_mfma_f32_16x16x16_bf16 v[116:119], a[92:93], v[92:93], v[116:119]// 0000000091B0: D3E10074 0DD2B95C
	v_mfma_f32_16x16x16_bf16 v[116:119], a[94:95], v[94:95], v[116:119]// 0000000091B8: D3E10074 0DD2BD5E
	v_mfma_f32_16x16x16_bf16 v[120:123], a[96:97], v[80:81], 0 // 0000000091C0: D3E10078 0A02A160
	v_mfma_f32_16x16x16_bf16 v[120:123], a[98:99], v[82:83], v[120:123]// 0000000091C8: D3E10078 0DE2A562
	v_mfma_f32_16x16x16_bf16 v[120:123], a[100:101], v[84:85], v[120:123]// 0000000091D0: D3E10078 0DE2A964
	v_mfma_f32_16x16x16_bf16 v[120:123], a[102:103], v[86:87], v[120:123]// 0000000091D8: D3E10078 0DE2AD66
	v_mfma_f32_16x16x16_bf16 v[120:123], a[104:105], v[88:89], v[120:123]// 0000000091E0: D3E10078 0DE2B168
	v_mfma_f32_16x16x16_bf16 v[120:123], a[106:107], v[90:91], v[120:123]// 0000000091E8: D3E10078 0DE2B56A
	v_mfma_f32_16x16x16_bf16 v[120:123], a[108:109], v[92:93], v[120:123]// 0000000091F0: D3E10078 0DE2B96C
	v_mfma_f32_16x16x16_bf16 v[120:123], a[110:111], v[94:95], v[120:123]// 0000000091F8: D3E10078 0DE2BD6E
	v_mfma_f32_16x16x16_bf16 v[124:127], a[112:113], v[80:81], 0// 000000009200: D3E1007C 0A02A170
	v_mfma_f32_16x16x16_bf16 v[124:127], a[114:115], v[82:83], v[124:127]// 000000009208: D3E1007C 0DF2A572
	v_mfma_f32_16x16x16_bf16 v[124:127], a[116:117], v[84:85], v[124:127]// 000000009210: D3E1007C 0DF2A974
	v_mfma_f32_16x16x16_bf16 v[124:127], a[118:119], v[86:87], v[124:127]// 000000009218: D3E1007C 0DF2AD76
	v_mfma_f32_16x16x16_bf16 v[124:127], a[120:121], v[88:89], v[124:127]// 000000009220: D3E1007C 0DF2B178
	v_mfma_f32_16x16x16_bf16 v[124:127], a[122:123], v[90:91], v[124:127]// 000000009228: D3E1007C 0DF2B57A
	v_mfma_f32_16x16x16_bf16 v[124:127], a[124:125], v[92:93], v[124:127]// 000000009230: D3E1007C 0DF2B97C
	v_mfma_f32_16x16x16_bf16 v[124:127], a[126:127], v[94:95], v[124:127]// 000000009238: D3E1007C 0DF2BD7E
	s_nop 8                                                    // 000000009240: BF800008
	s_and_b32 s60, s72, 0xff                                   // 000000009244: 863CFF48 000000FF
	v_mov_b32_e32 v56, s60                                     // 00000000924C: 7E70023C
	v_lshrrev_b32_e32 v31, 4, v0                               // 000000009250: 203E0084
	v_mul_i32_i24_e32 v31, 4, v31                              // 000000009254: 0C3E3E84
	s_mul_i32 s60, s7, 16                                      // 000000009258: 923C9007
	v_add_u32_e32 v31, s60, v31                                // 00000000925C: 683E3E3C
	v_add_u32_e32 v32, 1, v31                                  // 000000009260: 68403E81
	v_add_u32_e32 v33, 2, v31                                  // 000000009264: 68423E82
	v_add_u32_e32 v34, 3, v31                                  // 000000009268: 68443E83
	v_mov_b32_e32 v39, v55                                     // 00000000926C: 7E4E0337
	v_cmp_lt_u32_e64 s[40:41], v31, v56                        // 000000009270: D0C90028 0002711F
	v_add_u32_e32 v31, 64, v31                                 // 000000009278: 683E3EC0
	s_nop 0                                                    // 00000000927C: BF800000
	v_cndmask_b32_e64 v112, v39, v112, s[40:41]                // 000000009280: D1000070 00A2E127
	v_cmp_lt_u32_e64 s[40:41], v32, v56                        // 000000009288: D0C90028 00027120
	v_add_u32_e32 v32, 64, v32                                 // 000000009290: 684040C0
	s_nop 0                                                    // 000000009294: BF800000
	v_cndmask_b32_e64 v113, v39, v113, s[40:41]                // 000000009298: D1000071 00A2E327
	v_cmp_lt_u32_e64 s[40:41], v33, v56                        // 0000000092A0: D0C90028 00027121
	v_add_u32_e32 v33, 64, v33                                 // 0000000092A8: 684242C0
	s_nop 0                                                    // 0000000092AC: BF800000
	v_cndmask_b32_e64 v114, v39, v114, s[40:41]                // 0000000092B0: D1000072 00A2E527
	v_cmp_lt_u32_e64 s[40:41], v34, v56                        // 0000000092B8: D0C90028 00027122
	v_add_u32_e32 v34, 64, v34                                 // 0000000092C0: 684444C0
	s_nop 0                                                    // 0000000092C4: BF800000
	v_cndmask_b32_e64 v115, v39, v115, s[40:41]                // 0000000092C8: D1000073 00A2E727
	v_cmp_lt_u32_e64 s[40:41], v31, v56                        // 0000000092D0: D0C90028 0002711F
	v_add_u32_e32 v31, 64, v31                                 // 0000000092D8: 683E3EC0
	s_nop 0                                                    // 0000000092DC: BF800000
	v_cndmask_b32_e64 v116, v39, v116, s[40:41]                // 0000000092E0: D1000074 00A2E927
	v_cmp_lt_u32_e64 s[40:41], v32, v56                        // 0000000092E8: D0C90028 00027120
	v_add_u32_e32 v32, 64, v32                                 // 0000000092F0: 684040C0
	s_nop 0                                                    // 0000000092F4: BF800000
	v_cndmask_b32_e64 v117, v39, v117, s[40:41]                // 0000000092F8: D1000075 00A2EB27
	v_cmp_lt_u32_e64 s[40:41], v33, v56                        // 000000009300: D0C90028 00027121
	v_add_u32_e32 v33, 64, v33                                 // 000000009308: 684242C0
	s_nop 0                                                    // 00000000930C: BF800000
	v_cndmask_b32_e64 v118, v39, v118, s[40:41]                // 000000009310: D1000076 00A2ED27
	v_cmp_lt_u32_e64 s[40:41], v34, v56                        // 000000009318: D0C90028 00027122
	v_add_u32_e32 v34, 64, v34                                 // 000000009320: 684444C0
	s_nop 0                                                    // 000000009324: BF800000
	v_cndmask_b32_e64 v119, v39, v119, s[40:41]                // 000000009328: D1000077 00A2EF27
	v_cmp_lt_u32_e64 s[40:41], v31, v56                        // 000000009330: D0C90028 0002711F
	v_add_u32_e32 v31, 64, v31                                 // 000000009338: 683E3EC0
	s_nop 0                                                    // 00000000933C: BF800000
	v_cndmask_b32_e64 v120, v39, v120, s[40:41]                // 000000009340: D1000078 00A2F127
	v_cmp_lt_u32_e64 s[40:41], v32, v56                        // 000000009348: D0C90028 00027120
	v_add_u32_e32 v32, 64, v32                                 // 000000009350: 684040C0
	s_nop 0                                                    // 000000009354: BF800000
	v_cndmask_b32_e64 v121, v39, v121, s[40:41]                // 000000009358: D1000079 00A2F327
	v_cmp_lt_u32_e64 s[40:41], v33, v56                        // 000000009360: D0C90028 00027121
	v_add_u32_e32 v33, 64, v33                                 // 000000009368: 684242C0
	s_nop 0                                                    // 00000000936C: BF800000
	v_cndmask_b32_e64 v122, v39, v122, s[40:41]                // 000000009370: D100007A 00A2F527
	v_cmp_lt_u32_e64 s[40:41], v34, v56                        // 000000009378: D0C90028 00027122
	v_add_u32_e32 v34, 64, v34                                 // 000000009380: 684444C0
	s_nop 0                                                    // 000000009384: BF800000
	v_cndmask_b32_e64 v123, v39, v123, s[40:41]                // 000000009388: D100007B 00A2F727
	v_cmp_lt_u32_e64 s[40:41], v31, v56                        // 000000009390: D0C90028 0002711F
	v_add_u32_e32 v31, 64, v31                                 // 000000009398: 683E3EC0
	s_nop 0                                                    // 00000000939C: BF800000
	v_cndmask_b32_e64 v124, v39, v124, s[40:41]                // 0000000093A0: D100007C 00A2F927
	v_cmp_lt_u32_e64 s[40:41], v32, v56                        // 0000000093A8: D0C90028 00027120
	v_add_u32_e32 v32, 64, v32                                 // 0000000093B0: 684040C0
	s_nop 0                                                    // 0000000093B4: BF800000
	v_cndmask_b32_e64 v125, v39, v125, s[40:41]                // 0000000093B8: D100007D 00A2FB27
	v_cmp_lt_u32_e64 s[40:41], v33, v56                        // 0000000093C0: D0C90028 00027121
	v_add_u32_e32 v33, 64, v33                                 // 0000000093C8: 684242C0
	s_nop 0                                                    // 0000000093CC: BF800000
	v_cndmask_b32_e64 v126, v39, v126, s[40:41]                // 0000000093D0: D100007E 00A2FD27
	v_cmp_lt_u32_e64 s[40:41], v34, v56                        // 0000000093D8: D0C90028 00027122
	v_add_u32_e32 v34, 64, v34                                 // 0000000093E0: 684444C0
	s_nop 0                                                    // 0000000093E4: BF800000
	v_cndmask_b32_e64 v127, v39, v127, s[40:41]                // 0000000093E8: D100007F 00A2FF27
	s_nop 8                                                    // 0000000093F0: BF800008
	v_mov_b32_e32 v50, v112                                    // 0000000093F4: 7E640370
	v_max3_f32 v50, v112, v113, v50                            // 0000000093F8: D1D30032 04CAE370
	v_max3_f32 v50, v114, v115, v50                            // 000000009400: D1D30032 04CAE772
	v_max3_f32 v50, v116, v117, v50                            // 000000009408: D1D30032 04CAEB74
	v_max3_f32 v50, v118, v119, v50                            // 000000009410: D1D30032 04CAEF76
	v_max3_f32 v50, v120, v121, v50                            // 000000009418: D1D30032 04CAF378
	v_max3_f32 v50, v122, v123, v50                            // 000000009420: D1D30032 04CAF77A
	v_max3_f32 v50, v124, v125, v50                            // 000000009428: D1D30032 04CAFB7C
	v_max3_f32 v50, v126, v127, v50                            // 000000009430: D1D30032 04CAFF7E
	ds_write_b32 v11, v50                                      // 000000009438: D81A0000 0000320B
	s_waitcnt lgkmcnt(0)                                       // 000000009440: BF8CC07F
	s_barrier                                                  // 000000009444: BF8A0000
	ds_read_b32 v64, v10                                       // 000000009448: D86C0000 4000000A
	ds_read_b32 v65, v10 offset:64                             // 000000009450: D86C0040 4100000A
	ds_read_b32 v66, v10 offset:128                            // 000000009458: D86C0080 4200000A
	ds_read_b32 v67, v10 offset:192                            // 000000009460: D86C00C0 4300000A
	ds_read_b32 v68, v10 offset:256                            // 000000009468: D86C0100 4400000A
	ds_read_b32 v69, v10 offset:320                            // 000000009470: D86C0140 4500000A
	ds_read_b32 v70, v10 offset:384                            // 000000009478: D86C0180 4600000A
	ds_read_b32 v71, v10 offset:448                            // 000000009480: D86C01C0 4700000A
	ds_read_b32 v72, v10 offset:512                            // 000000009488: D86C0200 4800000A
	ds_read_b32 v73, v10 offset:576                            // 000000009490: D86C0240 4900000A
	ds_read_b32 v74, v10 offset:640                            // 000000009498: D86C0280 4A00000A
	ds_read_b32 v75, v10 offset:704                            // 0000000094A0: D86C02C0 4B00000A
	ds_read_b32 v76, v10 offset:768                            // 0000000094A8: D86C0300 4C00000A
	ds_read_b32 v77, v10 offset:832                            // 0000000094B0: D86C0340 4D00000A
	ds_read_b32 v78, v10 offset:896                            // 0000000094B8: D86C0380 4E00000A
	ds_read_b32 v79, v10 offset:960                            // 0000000094C0: D86C03C0 4F00000A
	s_waitcnt lgkmcnt(0)                                       // 0000000094C8: BF8CC07F
	v_max3_f32 v50, v64, v65, v50                              // 0000000094CC: D1D30032 04CA8340
	v_max3_f32 v50, v66, v67, v50                              // 0000000094D4: D1D30032 04CA8742
	v_max3_f32 v50, v68, v69, v50                              // 0000000094DC: D1D30032 04CA8B44
	v_max3_f32 v50, v70, v71, v50                              // 0000000094E4: D1D30032 04CA8F46
	v_max3_f32 v50, v72, v73, v50                              // 0000000094EC: D1D30032 04CA9348
	v_max3_f32 v50, v74, v75, v50                              // 0000000094F4: D1D30032 04CA974A
	v_max3_f32 v50, v76, v77, v50                              // 0000000094FC: D1D30032 04CA9B4C
	v_max3_f32 v50, v78, v79, v50                              // 000000009504: D1D30032 04CA9F4E
	v_cmp_eq_u32_e64 s[40:41], v55, v14                        // 00000000950C: D0CA0028 00021D37
	s_nop 1                                                    // 000000009514: BF800001
	v_max_f32_e32 v16, v50, v14                                // 000000009518: 16201D32
	v_sub_f32_e32 v51, v14, v16                                // 00000000951C: 0466210E
	v_cndmask_b32_e64 v51, v51, 0, s[40:41]                    // 000000009520: D1000033 00A10133
	v_mov_b32_e32 v14, v16                                     // 000000009528: 7E1C0310
	v_mul_f32_e32 v53, s64, v16                                // 00000000952C: 0A6A2040
	v_mul_f32_e32 v51, s64, v51                                // 000000009530: 0A666640
	v_exp_f32_e32 v51, v51                                     // 000000009534: 7E664133
	v_fma_f32 v112, v112, s64, -v53                            // 000000009538: D1CB0070 84D48170
	v_fma_f32 v113, v113, s64, -v53                            // 000000009540: D1CB0071 84D48171
	v_fma_f32 v114, v114, s64, -v53                            // 000000009548: D1CB0072 84D48172
	v_fma_f32 v115, v115, s64, -v53                            // 000000009550: D1CB0073 84D48173
	v_fma_f32 v116, v116, s64, -v53                            // 000000009558: D1CB0074 84D48174
	v_fma_f32 v117, v117, s64, -v53                            // 000000009560: D1CB0075 84D48175
	v_fma_f32 v118, v118, s64, -v53                            // 000000009568: D1CB0076 84D48176
	v_fma_f32 v119, v119, s64, -v53                            // 000000009570: D1CB0077 84D48177
	v_fma_f32 v120, v120, s64, -v53                            // 000000009578: D1CB0078 84D48178
	v_fma_f32 v121, v121, s64, -v53                            // 000000009580: D1CB0079 84D48179
	v_fma_f32 v122, v122, s64, -v53                            // 000000009588: D1CB007A 84D4817A
	v_fma_f32 v123, v123, s64, -v53                            // 000000009590: D1CB007B 84D4817B
	v_fma_f32 v124, v124, s64, -v53                            // 000000009598: D1CB007C 84D4817C
	v_fma_f32 v125, v125, s64, -v53                            // 0000000095A0: D1CB007D 84D4817D
	v_fma_f32 v126, v126, s64, -v53                            // 0000000095A8: D1CB007E 84D4817E
	v_fma_f32 v127, v127, s64, -v53                            // 0000000095B0: D1CB007F 84D4817F
	v_exp_f32_e32 v112, v112                                   // 0000000095B8: 7EE04170
	v_exp_f32_e32 v113, v113                                   // 0000000095BC: 7EE24171
	v_exp_f32_e32 v114, v114                                   // 0000000095C0: 7EE44172
	v_exp_f32_e32 v115, v115                                   // 0000000095C4: 7EE64173
	v_exp_f32_e32 v116, v116                                   // 0000000095C8: 7EE84174
	v_exp_f32_e32 v117, v117                                   // 0000000095CC: 7EEA4175
	v_exp_f32_e32 v118, v118                                   // 0000000095D0: 7EEC4176
	v_exp_f32_e32 v119, v119                                   // 0000000095D4: 7EEE4177
	v_exp_f32_e32 v120, v120                                   // 0000000095D8: 7EF04178
	v_exp_f32_e32 v121, v121                                   // 0000000095DC: 7EF24179
	v_exp_f32_e32 v122, v122                                   // 0000000095E0: 7EF4417A
	v_exp_f32_e32 v123, v123                                   // 0000000095E4: 7EF6417B
	v_exp_f32_e32 v124, v124                                   // 0000000095E8: 7EF8417C
	v_exp_f32_e32 v125, v125                                   // 0000000095EC: 7EFA417D
	v_exp_f32_e32 v126, v126                                   // 0000000095F0: 7EFC417E
	v_exp_f32_e32 v127, v127                                   // 0000000095F4: 7EFE417F
	v_mul_f32_e32 v43, v51, v43                                // 0000000095F8: 0A565733
	v_mov_b32_e32 v45, v112                                    // 0000000095FC: 7E5A0370
	v_add_f32_e32 v45, v113, v45                               // 000000009600: 025A5B71
	v_add_f32_e32 v45, v114, v45                               // 000000009604: 025A5B72
	v_add_f32_e32 v45, v115, v45                               // 000000009608: 025A5B73
	v_add_f32_e32 v45, v116, v45                               // 00000000960C: 025A5B74
	v_add_f32_e32 v45, v117, v45                               // 000000009610: 025A5B75
	v_add_f32_e32 v45, v118, v45                               // 000000009614: 025A5B76
	v_add_f32_e32 v45, v119, v45                               // 000000009618: 025A5B77
	v_add_f32_e32 v45, v120, v45                               // 00000000961C: 025A5B78
	v_add_f32_e32 v45, v121, v45                               // 000000009620: 025A5B79
	v_add_f32_e32 v45, v122, v45                               // 000000009624: 025A5B7A
	v_add_f32_e32 v45, v123, v45                               // 000000009628: 025A5B7B
	v_add_f32_e32 v45, v124, v45                               // 00000000962C: 025A5B7C
	v_add_f32_e32 v45, v125, v45                               // 000000009630: 025A5B7D
	v_add_f32_e32 v45, v126, v45                               // 000000009634: 025A5B7E
	v_add_f32_e32 v45, v127, v45                               // 000000009638: 025A5B7F
	v_add_f32_e32 v43, v45, v43                                // 00000000963C: 0256572D
	v_cmp_u_f32_e64 s[40:41], v112, v112                       // 000000009640: D0480028 0002E170
	v_add3_u32 v19, v112, v22, 1                               // 000000009648: D1FF0013 02062D70
	v_cndmask_b32_e64 v39, v19, v21, s[40:41]                  // 000000009650: D1000027 00A22B13
	v_cmp_u_f32_e64 s[40:41], v113, v113                       // 000000009658: D0480028 0002E371
	v_add3_u32 v19, v113, v22, 1                               // 000000009660: D1FF0013 02062D71
	v_cndmask_b32_e64 v40, v19, v21, s[40:41]                  // 000000009668: D1000028 00A22B13
	v_perm_b32 v112, v40, v39, s52                             // 000000009670: D1ED0070 00D24F28
	v_cmp_u_f32_e64 s[40:41], v114, v114                       // 000000009678: D0480028 0002E572
	v_add3_u32 v19, v114, v22, 1                               // 000000009680: D1FF0013 02062D72
	v_cndmask_b32_e64 v39, v19, v21, s[40:41]                  // 000000009688: D1000027 00A22B13
	v_cmp_u_f32_e64 s[40:41], v115, v115                       // 000000009690: D0480028 0002E773
	v_add3_u32 v19, v115, v22, 1                               // 000000009698: D1FF0013 02062D73
	v_cndmask_b32_e64 v40, v19, v21, s[40:41]                  // 0000000096A0: D1000028 00A22B13
	v_perm_b32 v113, v40, v39, s52                             // 0000000096A8: D1ED0071 00D24F28
	v_cmp_u_f32_e64 s[40:41], v116, v116                       // 0000000096B0: D0480028 0002E974
	v_add3_u32 v19, v116, v22, 1                               // 0000000096B8: D1FF0013 02062D74
	v_cndmask_b32_e64 v39, v19, v21, s[40:41]                  // 0000000096C0: D1000027 00A22B13
	v_cmp_u_f32_e64 s[40:41], v117, v117                       // 0000000096C8: D0480028 0002EB75
	v_add3_u32 v19, v117, v22, 1                               // 0000000096D0: D1FF0013 02062D75
	v_cndmask_b32_e64 v40, v19, v21, s[40:41]                  // 0000000096D8: D1000028 00A22B13
	v_perm_b32 v114, v40, v39, s52                             // 0000000096E0: D1ED0072 00D24F28
	v_cmp_u_f32_e64 s[40:41], v118, v118                       // 0000000096E8: D0480028 0002ED76
	v_add3_u32 v19, v118, v22, 1                               // 0000000096F0: D1FF0013 02062D76
	v_cndmask_b32_e64 v39, v19, v21, s[40:41]                  // 0000000096F8: D1000027 00A22B13
	v_cmp_u_f32_e64 s[40:41], v119, v119                       // 000000009700: D0480028 0002EF77
	v_add3_u32 v19, v119, v22, 1                               // 000000009708: D1FF0013 02062D77
	v_cndmask_b32_e64 v40, v19, v21, s[40:41]                  // 000000009710: D1000028 00A22B13
	v_perm_b32 v115, v40, v39, s52                             // 000000009718: D1ED0073 00D24F28
	v_cmp_u_f32_e64 s[40:41], v120, v120                       // 000000009720: D0480028 0002F178
	v_add3_u32 v19, v120, v22, 1                               // 000000009728: D1FF0013 02062D78
	v_cndmask_b32_e64 v39, v19, v21, s[40:41]                  // 000000009730: D1000027 00A22B13
	v_cmp_u_f32_e64 s[40:41], v121, v121                       // 000000009738: D0480028 0002F379
	v_add3_u32 v19, v121, v22, 1                               // 000000009740: D1FF0013 02062D79
	v_cndmask_b32_e64 v40, v19, v21, s[40:41]                  // 000000009748: D1000028 00A22B13
	v_perm_b32 v116, v40, v39, s52                             // 000000009750: D1ED0074 00D24F28
	v_cmp_u_f32_e64 s[40:41], v122, v122                       // 000000009758: D0480028 0002F57A
	v_add3_u32 v19, v122, v22, 1                               // 000000009760: D1FF0013 02062D7A
	v_cndmask_b32_e64 v39, v19, v21, s[40:41]                  // 000000009768: D1000027 00A22B13
	v_cmp_u_f32_e64 s[40:41], v123, v123                       // 000000009770: D0480028 0002F77B
	v_add3_u32 v19, v123, v22, 1                               // 000000009778: D1FF0013 02062D7B
	v_cndmask_b32_e64 v40, v19, v21, s[40:41]                  // 000000009780: D1000028 00A22B13
	v_perm_b32 v117, v40, v39, s52                             // 000000009788: D1ED0075 00D24F28
	v_cmp_u_f32_e64 s[40:41], v124, v124                       // 000000009790: D0480028 0002F97C
	v_add3_u32 v19, v124, v22, 1                               // 000000009798: D1FF0013 02062D7C
	v_cndmask_b32_e64 v39, v19, v21, s[40:41]                  // 0000000097A0: D1000027 00A22B13
	v_cmp_u_f32_e64 s[40:41], v125, v125                       // 0000000097A8: D0480028 0002FB7D
	v_add3_u32 v19, v125, v22, 1                               // 0000000097B0: D1FF0013 02062D7D
	v_cndmask_b32_e64 v40, v19, v21, s[40:41]                  // 0000000097B8: D1000028 00A22B13
	v_perm_b32 v118, v40, v39, s52                             // 0000000097C0: D1ED0076 00D24F28
	v_cmp_u_f32_e64 s[40:41], v126, v126                       // 0000000097C8: D0480028 0002FD7E
	v_add3_u32 v19, v126, v22, 1                               // 0000000097D0: D1FF0013 02062D7E
	v_cndmask_b32_e64 v39, v19, v21, s[40:41]                  // 0000000097D8: D1000027 00A22B13
	v_cmp_u_f32_e64 s[40:41], v127, v127                       // 0000000097E0: D0480028 0002FF7F
	v_add3_u32 v19, v127, v22, 1                               // 0000000097E8: D1FF0013 02062D7F
	v_cndmask_b32_e64 v40, v19, v21, s[40:41]                  // 0000000097F0: D1000028 00A22B13
	v_perm_b32 v119, v40, v39, s52                             // 0000000097F8: D1ED0077 00D24F28
	ds_write_b64 v13, v[112:113] offset:4096                   // 000000009800: D89A1000 0000700D
	ds_write_b64 v13, v[114:115] offset:6144                   // 000000009808: D89A1800 0000720D
	ds_write_b64 v13, v[116:117] offset:8192                   // 000000009810: D89A2000 0000740D
	ds_write_b64 v13, v[118:119] offset:10240                  // 000000009818: D89A2800 0000760D
	s_waitcnt lgkmcnt(0)                                       // 000000009820: BF8CC07F
	s_barrier                                                  // 000000009824: BF8A0000
	ds_read_b64 v[112:113], v12 offset:4096                    // 000000009828: D8EC1000 7000000C
	ds_read_b64 v[114:115], v12 offset:4224                    // 000000009830: D8EC1080 7200000C
	ds_read_b64 v[116:117], v12 offset:5120                    // 000000009838: D8EC1400 7400000C
	ds_read_b64 v[118:119], v12 offset:5248                    // 000000009840: D8EC1480 7600000C
	ds_read_b64 v[120:121], v12 offset:6144                    // 000000009848: D8EC1800 7800000C
	ds_read_b64 v[122:123], v12 offset:6272                    // 000000009850: D8EC1880 7A00000C
	ds_read_b64 v[124:125], v12 offset:7168                    // 000000009858: D8EC1C00 7C00000C
	ds_read_b64 v[126:127], v12 offset:7296                    // 000000009860: D8EC1C80 7E00000C
	ds_read_b64 v[128:129], v12 offset:8192                    // 000000009868: D8EC2000 8000000C
	ds_read_b64 v[130:131], v12 offset:8320                    // 000000009870: D8EC2080 8200000C
	ds_read_b64 v[132:133], v12 offset:9216                    // 000000009878: D8EC2400 8400000C
	ds_read_b64 v[134:135], v12 offset:9344                    // 000000009880: D8EC2480 8600000C
	ds_read_b64 v[136:137], v12 offset:10240                   // 000000009888: D8EC2800 8800000C
	ds_read_b64 v[138:139], v12 offset:10368                   // 000000009890: D8EC2880 8A00000C
	ds_read_b64 v[140:141], v12 offset:11264                   // 000000009898: D8EC2C00 8C00000C
	ds_read_b64 v[142:143], v12 offset:11392                   // 0000000098A0: D8EC2C80 8E00000C
	s_waitcnt lgkmcnt(0)                                       // 0000000098A8: BF8CC07F
	v_mul_f32_e32 v176, v51, v176                              // 0000000098AC: 0B616133
	v_mul_f32_e32 v177, v51, v177                              // 0000000098B0: 0B636333
	v_mul_f32_e32 v178, v51, v178                              // 0000000098B4: 0B656533
	v_mul_f32_e32 v179, v51, v179                              // 0000000098B8: 0B676733
	v_mul_f32_e32 v180, v51, v180                              // 0000000098BC: 0B696933
	v_mul_f32_e32 v181, v51, v181                              // 0000000098C0: 0B6B6B33
	v_mul_f32_e32 v182, v51, v182                              // 0000000098C4: 0B6D6D33
	v_mul_f32_e32 v183, v51, v183                              // 0000000098C8: 0B6F6F33
	s_waitcnt vmcnt(0)                                         // 0000000098CC: BF8C0F70
	s_barrier                                                  // 0000000098D0: BF8A0000
	v_mfma_f32_16x16x16_bf16 v[176:179], a[192:193], v[112:113], v[176:179]// 0000000098D4: D3E100B0 0EC2E1C0
	v_mfma_f32_16x16x16_bf16 v[176:179], a[194:195], v[114:115], v[176:179]// 0000000098DC: D3E100B0 0EC2E5C2
	v_mfma_f32_16x16x16_bf16 v[176:179], a[196:197], v[116:117], v[176:179]// 0000000098E4: D3E100B0 0EC2E9C4
	v_mfma_f32_16x16x16_bf16 v[176:179], a[198:199], v[118:119], v[176:179]// 0000000098EC: D3E100B0 0EC2EDC6
	v_mfma_f32_16x16x16_bf16 v[176:179], a[200:201], v[120:121], v[176:179]// 0000000098F4: D3E100B0 0EC2F1C8
	v_mfma_f32_16x16x16_bf16 v[176:179], a[202:203], v[122:123], v[176:179]// 0000000098FC: D3E100B0 0EC2F5CA
	v_mfma_f32_16x16x16_bf16 v[176:179], a[204:205], v[124:125], v[176:179]// 000000009904: D3E100B0 0EC2F9CC
	v_mfma_f32_16x16x16_bf16 v[176:179], a[206:207], v[126:127], v[176:179]// 00000000990C: D3E100B0 0EC2FDCE
	v_mfma_f32_16x16x16_bf16 v[176:179], a[208:209], v[128:129], v[176:179]// 000000009914: D3E100B0 0EC301D0
	v_mfma_f32_16x16x16_bf16 v[176:179], a[210:211], v[130:131], v[176:179]// 00000000991C: D3E100B0 0EC305D2
	v_mfma_f32_16x16x16_bf16 v[176:179], a[212:213], v[132:133], v[176:179]// 000000009924: D3E100B0 0EC309D4
	v_mfma_f32_16x16x16_bf16 v[176:179], a[214:215], v[134:135], v[176:179]// 00000000992C: D3E100B0 0EC30DD6
	v_mfma_f32_16x16x16_bf16 v[176:179], a[216:217], v[136:137], v[176:179]// 000000009934: D3E100B0 0EC311D8
	v_mfma_f32_16x16x16_bf16 v[176:179], a[218:219], v[138:139], v[176:179]// 00000000993C: D3E100B0 0EC315DA
	v_mfma_f32_16x16x16_bf16 v[176:179], a[220:221], v[140:141], v[176:179]// 000000009944: D3E100B0 0EC319DC
	v_mfma_f32_16x16x16_bf16 v[176:179], a[222:223], v[142:143], v[176:179]// 00000000994C: D3E100B0 0EC31DDE
	v_mfma_f32_16x16x16_bf16 v[180:183], a[224:225], v[112:113], v[180:183]// 000000009954: D3E100B4 0ED2E1E0
	v_mfma_f32_16x16x16_bf16 v[180:183], a[226:227], v[114:115], v[180:183]// 00000000995C: D3E100B4 0ED2E5E2
	v_mfma_f32_16x16x16_bf16 v[180:183], a[228:229], v[116:117], v[180:183]// 000000009964: D3E100B4 0ED2E9E4
	v_mfma_f32_16x16x16_bf16 v[180:183], a[230:231], v[118:119], v[180:183]// 00000000996C: D3E100B4 0ED2EDE6
	v_mfma_f32_16x16x16_bf16 v[180:183], a[232:233], v[120:121], v[180:183]// 000000009974: D3E100B4 0ED2F1E8
	v_mfma_f32_16x16x16_bf16 v[180:183], a[234:235], v[122:123], v[180:183]// 00000000997C: D3E100B4 0ED2F5EA
	v_mfma_f32_16x16x16_bf16 v[180:183], a[236:237], v[124:125], v[180:183]// 000000009984: D3E100B4 0ED2F9EC
	v_mfma_f32_16x16x16_bf16 v[180:183], a[238:239], v[126:127], v[180:183]// 00000000998C: D3E100B4 0ED2FDEE
	v_mfma_f32_16x16x16_bf16 v[180:183], a[240:241], v[128:129], v[180:183]// 000000009994: D3E100B4 0ED301F0
	v_mfma_f32_16x16x16_bf16 v[180:183], a[242:243], v[130:131], v[180:183]// 00000000999C: D3E100B4 0ED305F2
	v_mfma_f32_16x16x16_bf16 v[180:183], a[244:245], v[132:133], v[180:183]// 0000000099A4: D3E100B4 0ED309F4
	v_mfma_f32_16x16x16_bf16 v[180:183], a[246:247], v[134:135], v[180:183]// 0000000099AC: D3E100B4 0ED30DF6
	v_mfma_f32_16x16x16_bf16 v[180:183], a[248:249], v[136:137], v[180:183]// 0000000099B4: D3E100B4 0ED311F8
	v_mfma_f32_16x16x16_bf16 v[180:183], a[250:251], v[138:139], v[180:183]// 0000000099BC: D3E100B4 0ED315FA
	v_mfma_f32_16x16x16_bf16 v[180:183], a[252:253], v[140:141], v[180:183]// 0000000099C4: D3E100B4 0ED319FC
	v_mfma_f32_16x16x16_bf16 v[180:183], a[254:255], v[142:143], v[180:183]// 0000000099CC: D3E100B4 0ED31DFE
	s_nop 8                                                    // 0000000099D4: BF800008
	s_branch label_1DF8                                        // 0000000099D8: BF820000

00000000000099dc <label_1DF8>:
	ds_write_b32 v11, v43                                      // 0000000099DC: D81A0000 00002B0B
	s_waitcnt lgkmcnt(0)                                       // 0000000099E4: BF8CC07F
	s_barrier                                                  // 0000000099E8: BF8A0000
	ds_read_b32 v64, v10                                       // 0000000099EC: D86C0000 4000000A
	ds_read_b32 v65, v10 offset:64                             // 0000000099F4: D86C0040 4100000A
	ds_read_b32 v66, v10 offset:128                            // 0000000099FC: D86C0080 4200000A
	ds_read_b32 v67, v10 offset:192                            // 000000009A04: D86C00C0 4300000A
	ds_read_b32 v68, v10 offset:256                            // 000000009A0C: D86C0100 4400000A
	ds_read_b32 v69, v10 offset:320                            // 000000009A14: D86C0140 4500000A
	ds_read_b32 v70, v10 offset:384                            // 000000009A1C: D86C0180 4600000A
	ds_read_b32 v71, v10 offset:448                            // 000000009A24: D86C01C0 4700000A
	ds_read_b32 v72, v10 offset:512                            // 000000009A2C: D86C0200 4800000A
	ds_read_b32 v73, v10 offset:576                            // 000000009A34: D86C0240 4900000A
	ds_read_b32 v74, v10 offset:640                            // 000000009A3C: D86C0280 4A00000A
	ds_read_b32 v75, v10 offset:704                            // 000000009A44: D86C02C0 4B00000A
	ds_read_b32 v76, v10 offset:768                            // 000000009A4C: D86C0300 4C00000A
	ds_read_b32 v77, v10 offset:832                            // 000000009A54: D86C0340 4D00000A
	ds_read_b32 v78, v10 offset:896                            // 000000009A5C: D86C0380 4E00000A
	ds_read_b32 v79, v10 offset:960                            // 000000009A64: D86C03C0 4F00000A
	s_waitcnt lgkmcnt(0)                                       // 000000009A6C: BF8CC07F
	v_mov_b32_e32 v43, 0                                       // 000000009A70: 7E560280
	v_add_f32_e32 v43, v64, v43                                // 000000009A74: 02565740
	v_add_f32_e32 v43, v65, v43                                // 000000009A78: 02565741
	v_add_f32_e32 v43, v66, v43                                // 000000009A7C: 02565742
	v_add_f32_e32 v43, v67, v43                                // 000000009A80: 02565743
	v_add_f32_e32 v43, v68, v43                                // 000000009A84: 02565744
	v_add_f32_e32 v43, v69, v43                                // 000000009A88: 02565745
	v_add_f32_e32 v43, v70, v43                                // 000000009A8C: 02565746
	v_add_f32_e32 v43, v71, v43                                // 000000009A90: 02565747
	v_add_f32_e32 v43, v72, v43                                // 000000009A94: 02565748
	v_add_f32_e32 v43, v73, v43                                // 000000009A98: 02565749
	v_add_f32_e32 v43, v74, v43                                // 000000009A9C: 0256574A
	v_add_f32_e32 v43, v75, v43                                // 000000009AA0: 0256574B
	v_add_f32_e32 v43, v76, v43                                // 000000009AA4: 0256574C
	v_add_f32_e32 v43, v77, v43                                // 000000009AA8: 0256574D
	v_add_f32_e32 v43, v78, v43                                // 000000009AAC: 0256574E
	v_add_f32_e32 v43, v79, v43                                // 000000009AB0: 0256574F
	s_nop 1                                                    // 000000009AB4: BF800001
	v_rcp_f32_e32 v43, v43                                     // 000000009AB8: 7E56452B
	s_nop 1                                                    // 000000009ABC: BF800001
	v_mul_f32_e32 v176, v43, v176                              // 000000009AC0: 0B61612B
	v_mul_f32_e32 v177, v43, v177                              // 000000009AC4: 0B63632B
	v_mul_f32_e32 v178, v43, v178                              // 000000009AC8: 0B65652B
	v_mul_f32_e32 v179, v43, v179                              // 000000009ACC: 0B67672B
	v_mul_f32_e32 v180, v43, v180                              // 000000009AD0: 0B69692B
	v_mul_f32_e32 v181, v43, v181                              // 000000009AD4: 0B6B6B2B
	v_mul_f32_e32 v182, v43, v182                              // 000000009AD8: 0B6D6D2B
	v_mul_f32_e32 v183, v43, v183                              // 000000009ADC: 0B6F6F2B
	v_cmp_u_f32_e64 s[40:41], v176, v176                       // 000000009AE0: D0480028 000361B0
	v_add3_u32 v19, v176, v22, 1                               // 000000009AE8: D1FF0013 02062DB0
	v_cndmask_b32_e64 v39, v19, v21, s[40:41]                  // 000000009AF0: D1000027 00A22B13
	v_cmp_u_f32_e64 s[40:41], v177, v177                       // 000000009AF8: D0480028 000363B1
	v_add3_u32 v19, v177, v22, 1                               // 000000009B00: D1FF0013 02062DB1
	v_cndmask_b32_e64 v40, v19, v21, s[40:41]                  // 000000009B08: D1000028 00A22B13
	v_perm_b32 v176, v40, v39, s52                             // 000000009B10: D1ED00B0 00D24F28
	v_cmp_u_f32_e64 s[40:41], v178, v178                       // 000000009B18: D0480028 000365B2
	v_add3_u32 v19, v178, v22, 1                               // 000000009B20: D1FF0013 02062DB2
	v_cndmask_b32_e64 v39, v19, v21, s[40:41]                  // 000000009B28: D1000027 00A22B13
	v_cmp_u_f32_e64 s[40:41], v179, v179                       // 000000009B30: D0480028 000367B3
	v_add3_u32 v19, v179, v22, 1                               // 000000009B38: D1FF0013 02062DB3
	v_cndmask_b32_e64 v40, v19, v21, s[40:41]                  // 000000009B40: D1000028 00A22B13
	v_perm_b32 v177, v40, v39, s52                             // 000000009B48: D1ED00B1 00D24F28
	v_cmp_u_f32_e64 s[40:41], v180, v180                       // 000000009B50: D0480028 000369B4
	v_add3_u32 v19, v180, v22, 1                               // 000000009B58: D1FF0013 02062DB4
	v_cndmask_b32_e64 v39, v19, v21, s[40:41]                  // 000000009B60: D1000027 00A22B13
	v_cmp_u_f32_e64 s[40:41], v181, v181                       // 000000009B68: D0480028 00036BB5
	v_add3_u32 v19, v181, v22, 1                               // 000000009B70: D1FF0013 02062DB5
	v_cndmask_b32_e64 v40, v19, v21, s[40:41]                  // 000000009B78: D1000028 00A22B13
	v_perm_b32 v178, v40, v39, s52                             // 000000009B80: D1ED00B2 00D24F28
	v_cmp_u_f32_e64 s[40:41], v182, v182                       // 000000009B88: D0480028 00036DB6
	v_add3_u32 v19, v182, v22, 1                               // 000000009B90: D1FF0013 02062DB6
	v_cndmask_b32_e64 v39, v19, v21, s[40:41]                  // 000000009B98: D1000027 00A22B13
	v_cmp_u_f32_e64 s[40:41], v183, v183                       // 000000009BA0: D0480028 00036FB7
	v_add3_u32 v19, v183, v22, 1                               // 000000009BA8: D1FF0013 02062DB7
	v_cndmask_b32_e64 v40, v19, v21, s[40:41]                  // 000000009BB0: D1000028 00A22B13
	v_perm_b32 v179, v40, v39, s52                             // 000000009BB8: D1ED00B3 00D24F28
	v_lshrrev_b32_e32 v39, 4, v0                               // 000000009BC0: 204E0084
	v_mul_i32_i24_e32 v5, 34, v39                              // 000000009BC4: 0C0A4EA2
	v_and_b32_e32 v39, 15, v0                                  // 000000009BC8: 264E008F
	v_mul_i32_i24_e32 v40, 2, v39                              // 000000009BCC: 0C504E82
	v_add_u32_e32 v5, v40, v5                                  // 000000009BD0: 680A0B28
	s_mul_i32 s60, s7, 0x88                                    // 000000009BD4: 923CFF07 00000088
	v_add_u32_e32 v5, s60, v5                                  // 000000009BDC: 680A0A3C
	v_lshlrev_b32_e32 v5, 2, v5                                // 000000009BE0: 240A0A82
	ds_write_b64 v5, v[176:177] offset:36864                   // 000000009BE4: D89A9000 0000B005
	ds_write_b64 v5, v[178:179] offset:39040                   // 000000009BEC: D89A9880 0000B205
	v_lshrrev_b32_e32 v39, 1, v0                               // 000000009BF4: 204E0081
	v_mul_i32_i24_e32 v5, 34, v39                              // 000000009BF8: 0C0A4EA2
	v_and_b32_e32 v40, 1, v0                                   // 000000009BFC: 26500081
	v_add_u32_e32 v5, v40, v5                                  // 000000009C00: 680A0B28
	s_mul_i32 s60, s7, 2                                       // 000000009C04: 923C8207
	v_add_u32_e32 v5, s60, v5                                  // 000000009C08: 680A0A3C
	v_lshlrev_b32_e32 v5, 2, v5                                // 000000009C0C: 240A0A82
	s_waitcnt lgkmcnt(0)                                       // 000000009C10: BF8CC07F
	s_barrier                                                  // 000000009C14: BF8A0000
	ds_read_b32 v176, v5 offset:36864                          // 000000009C18: D86C9000 B0000005
	ds_read_b32 v177, v5 offset:36896                          // 000000009C20: D86C9020 B1000005
	ds_read_b32 v178, v5 offset:36928                          // 000000009C28: D86C9040 B2000005
	ds_read_b32 v179, v5 offset:36960                          // 000000009C30: D86C9060 B3000005
	s_waitcnt lgkmcnt(0)                                       // 000000009C38: BF8CC07F
	buffer_store_dword v176, v8, s[8:11], 0 offen              // 000000009C3C: E0701000 8002B008
	buffer_store_dword v177, v8, s[8:11], 0 offen offset:1024  // 000000009C44: E0701400 8002B108
	s_add_u32 s8, s75, s8                                      // 000000009C4C: 8008084B
	s_addc_u32 s9, 0, s9                                       // 000000009C50: 82090980
	buffer_store_dword v178, v8, s[8:11], 0 offen              // 000000009C54: E0701000 8002B208
	buffer_store_dword v179, v8, s[8:11], 0 offen offset:1024  // 000000009C5C: E0701400 8002B308
	s_add_u32 s8, s75, s8                                      // 000000009C64: 8008084B
	s_addc_u32 s9, 0, s9                                       // 000000009C68: 82090980
	s_branch label_3B18                                        // 000000009C6C: BF821C7B

0000000000009c70 <label_1E9D>:
	s_mov_b32 s88, 0xa0                                        // 000000009C70: BED800FF 000000A0
	s_mul_i32 s60, s3, s65                                     // 000000009C78: 923C4103
	s_mul_i32 s60, s60, 4                                      // 000000009C7C: 923C843C
	s_add_u32 s24, s60, s24                                    // 000000009C80: 8018183C
	s_addc_u32 s25, 0, s25                                     // 000000009C84: 82191980
	s_mov_b32 s56, 64                                          // 000000009C88: BEB800C0
	s_waitcnt lgkmcnt(0)                                       // 000000009C8C: BF8CC07F
	s_add_u32 s73, s72, 15                                     // 000000009C90: 80498F48
	s_lshr_b32 s73, s73, 4                                     // 000000009C94: 8F498449
	s_mul_i32 s60, s73, 4                                      // 000000009C98: 923C8449
	s_mov_b32 s26, s60                                         // 000000009C9C: BE9A003C
	v_and_b32_e32 v40, 3, v0                                   // 000000009CA0: 26500083
	v_cmp_eq_u32_e64 s[60:61], 0, v40                          // 000000009CA4: D0CA003C 00025080
	v_and_b32_e32 v39, 12, v0                                  // 000000009CAC: 264E008C
	v_add_u32_e32 v1, s7, v39                                  // 000000009CB0: 68024E07
	v_cndmask_b32_e64 v1, 0, v1, s[60:61]                      // 000000009CB4: D1000001 00F20280
	v_and_b32_e32 v40, 3, v0                                   // 000000009CBC: 26500083
	v_cmp_eq_u32_e64 s[60:61], 0, v40                          // 000000009CC0: D0CA003C 00025080
	v_lshrrev_b32_e32 v39, 5, v0                               // 000000009CC8: 204E0085
	v_and_b32_e32 v40, 14, v0                                  // 000000009CCC: 2650008E
	v_add_u32_e32 v39, v40, v39                                // 000000009CD0: 684E4F28
	v_cndmask_b32_e64 v39, v39, 0, s[60:61]                    // 000000009CD4: D1000027 00F10127
	v_add_u32_e32 v1, v1, v39                                  // 000000009CDC: 68024F01
	v_lshlrev_b32_e32 v1, 2, v1                                // 000000009CE0: 24020282
	v_writelane_b32 v1, 56, 7                                  // 000000009CE4: D28A0001 00010EB8
	v_writelane_b32 v1, 56, 23                                 // 000000009CEC: D28A0001 00012EB8
	v_writelane_b32 v1, 60, 39                                 // 000000009CF4: D28A0001 00014EBC
	v_writelane_b32 v1, 60, 55                                 // 000000009CFC: D28A0001 00016EBC
	buffer_load_dword v17, v1, s[24:27], 0 offen               // 000000009D04: E0501000 80061101
	v_add_u32_e32 v1, s56, v1                                  // 000000009D0C: 68020238
	buffer_load_dword v18, v1, s[24:27], 0 offen               // 000000009D10: E0501000 80061201
	s_cmp_le_u32 s73, 32                                       // 000000009D18: BF0BA049
	s_cselect_b32 s56, 0, s56                                  // 000000009D1C: 85383880
	s_mul_i32 s61, s2, s67                                     // 000000009D20: 923D4302
	s_mul_i32 s60, s84, s74                                    // 000000009D24: 923C4A54
	s_add_u32 s60, s60, s61                                    // 000000009D28: 803C3D3C
	s_add_u32 s12, s60, s12                                    // 000000009D2C: 800C0C3C
	s_addc_u32 s13, 0, s13                                     // 000000009D30: 820D0D80
	s_mul_i32 s60, s7, 0x420                                   // 000000009D34: 923CFF07 00000420
	s_add_u32 m0, 0, s60                                       // 000000009D3C: 807C3C80
	s_mul_i32 s60, s7, 0x100                                   // 000000009D40: 923CFF07 00000100
	v_lshlrev_b32_e32 v39, 2, v0                               // 000000009D48: 244E0082
	v_add_u32_e64 v39, v39, s60                                // 000000009D4C: D1340027 00007927
	v_add_u32_e32 v40, 0x400, v39                              // 000000009D54: 68504EFF 00000400
	buffer_load_dword v39, s[12:15], 0 offen lds               // 000000009D5C: E0511000 80030027
	s_add_u32 m0, m0, 0x100                                    // 000000009D64: 807CFF7C 00000100
	buffer_load_dword v40, s[12:15], 0 offen lds               // 000000009D6C: E0511000 80030028
	s_add_u32 m0, m0, 0x100                                    // 000000009D74: 807CFF7C 00000100
	s_add_u32 s12, s74, s12                                    // 000000009D7C: 800C0C4A
	s_addc_u32 s13, 0, s13                                     // 000000009D80: 820D0D80
	buffer_load_dword v39, s[12:15], 0 offen lds               // 000000009D84: E0511000 80030027
	s_add_u32 m0, m0, 0x100                                    // 000000009D8C: 807CFF7C 00000100
	buffer_load_dword v40, s[12:15], 0 offen lds               // 000000009D94: E0511000 80030028
	s_mul_i32 s60, 4, 0x420                                    // 000000009D9C: 923CFF84 00000420
	s_mul_i32 s61, s7, 0x420                                   // 000000009DA4: 923DFF07 00000420
	s_add_u32 m0, s60, s61                                     // 000000009DAC: 807C3D3C
	s_add_u32 s12, s74, s12                                    // 000000009DB0: 800C0C4A
	s_addc_u32 s13, 0, s13                                     // 000000009DB4: 820D0D80
	buffer_load_dword v39, s[12:15], 0 offen lds               // 000000009DB8: E0511000 80030027
	s_add_u32 m0, m0, 0x100                                    // 000000009DC0: 807CFF7C 00000100
	buffer_load_dword v40, s[12:15], 0 offen lds               // 000000009DC8: E0511000 80030028
	s_add_u32 m0, m0, 0x100                                    // 000000009DD0: 807CFF7C 00000100
	s_add_u32 s12, s74, s12                                    // 000000009DD8: 800C0C4A
	s_addc_u32 s13, 0, s13                                     // 000000009DDC: 820D0D80
	s_branch label_1F61                                        // 000000009DE0: BF820067

0000000000009de4 <label_1EFA>:
	s_mul_i32 s60, s3, s65                                     // 000000009DE4: 923C4103
	s_mul_i32 s60, s60, 4                                      // 000000009DE8: 923C843C
	s_add_u32 s24, s60, s24                                    // 000000009DEC: 8018183C
	s_addc_u32 s25, 0, s25                                     // 000000009DF0: 82191980
	s_mov_b32 s56, 64                                          // 000000009DF4: BEB800C0
	s_waitcnt lgkmcnt(0)                                       // 000000009DF8: BF8CC07F
	s_add_u32 s73, s72, 15                                     // 000000009DFC: 80498F48
	s_lshr_b32 s73, s73, 4                                     // 000000009E00: 8F498449
	s_mul_i32 s60, s73, 4                                      // 000000009E04: 923C8449
	s_mov_b32 s26, s60                                         // 000000009E08: BE9A003C
	v_and_b32_e32 v40, 3, v0                                   // 000000009E0C: 26500083
	v_cmp_eq_u32_e64 s[60:61], 0, v40                          // 000000009E10: D0CA003C 00025080
	v_and_b32_e32 v39, 12, v0                                  // 000000009E18: 264E008C
	v_add_u32_e32 v1, s7, v39                                  // 000000009E1C: 68024E07
	v_cndmask_b32_e64 v1, 0, v1, s[60:61]                      // 000000009E20: D1000001 00F20280
	v_and_b32_e32 v40, 3, v0                                   // 000000009E28: 26500083
	v_cmp_eq_u32_e64 s[60:61], 0, v40                          // 000000009E2C: D0CA003C 00025080
	v_lshrrev_b32_e32 v39, 5, v0                               // 000000009E34: 204E0085
	v_and_b32_e32 v40, 14, v0                                  // 000000009E38: 2650008E
	v_add_u32_e32 v39, v40, v39                                // 000000009E3C: 684E4F28
	v_cndmask_b32_e64 v39, v39, 0, s[60:61]                    // 000000009E40: D1000027 00F10127
	v_add_u32_e32 v1, v1, v39                                  // 000000009E48: 68024F01
	v_lshlrev_b32_e32 v1, 2, v1                                // 000000009E4C: 24020282
	v_writelane_b32 v1, 56, 7                                  // 000000009E50: D28A0001 00010EB8
	v_writelane_b32 v1, 56, 23                                 // 000000009E58: D28A0001 00012EB8
	v_writelane_b32 v1, 60, 39                                 // 000000009E60: D28A0001 00014EBC
	v_writelane_b32 v1, 60, 55                                 // 000000009E68: D28A0001 00016EBC
	buffer_load_dword v17, v1, s[24:27], 0 offen               // 000000009E70: E0501000 80061101
	v_add_u32_e32 v1, s56, v1                                  // 000000009E78: 68020238
	buffer_load_dword v18, v1, s[24:27], 0 offen               // 000000009E7C: E0501000 80061201
	s_cmp_le_u32 s73, 32                                       // 000000009E84: BF0BA049
	s_cselect_b32 s56, 0, s56                                  // 000000009E88: 85383880
	s_mul_i32 s61, s2, s67                                     // 000000009E8C: 923D4302
	s_mul_i32 s60, s84, s74                                    // 000000009E90: 923C4A54
	s_add_u32 s60, s60, s61                                    // 000000009E94: 803C3D3C
	s_add_u32 s12, s60, s12                                    // 000000009E98: 800C0C3C
	s_addc_u32 s13, 0, s13                                     // 000000009E9C: 820D0D80
	s_mul_i32 s60, s7, 0x420                                   // 000000009EA0: 923CFF07 00000420
	s_add_u32 m0, 0, s60                                       // 000000009EA8: 807C3C80
	s_mul_i32 s60, s7, 0x100                                   // 000000009EAC: 923CFF07 00000100
	v_lshlrev_b32_e32 v39, 2, v0                               // 000000009EB4: 244E0082
	v_add_u32_e64 v39, v39, s60                                // 000000009EB8: D1340027 00007927
	v_add_u32_e32 v40, 0x400, v39                              // 000000009EC0: 68504EFF 00000400
	buffer_load_dword v39, s[12:15], 0 offen lds               // 000000009EC8: E0511000 80030027
	s_add_u32 m0, m0, 0x100                                    // 000000009ED0: 807CFF7C 00000100
	buffer_load_dword v40, s[12:15], 0 offen lds               // 000000009ED8: E0511000 80030028
	s_add_u32 m0, m0, 0x100                                    // 000000009EE0: 807CFF7C 00000100
	s_add_u32 s12, s74, s12                                    // 000000009EE8: 800C0C4A
	s_addc_u32 s13, 0, s13                                     // 000000009EEC: 820D0D80
	buffer_load_dword v39, s[12:15], 0 offen lds               // 000000009EF0: E0511000 80030027
	s_add_u32 m0, m0, 0x100                                    // 000000009EF8: 807CFF7C 00000100
	buffer_load_dword v40, s[12:15], 0 offen lds               // 000000009F00: E0511000 80030028
	s_mul_i32 s60, 4, 0x420                                    // 000000009F08: 923CFF84 00000420
	s_mul_i32 s61, s7, 0x420                                   // 000000009F10: 923DFF07 00000420
	s_add_u32 m0, s60, s61                                     // 000000009F18: 807C3D3C
	s_add_u32 s12, s74, s12                                    // 000000009F1C: 800C0C4A
	s_addc_u32 s13, 0, s13                                     // 000000009F20: 820D0D80
	buffer_load_dword v39, s[12:15], 0 offen lds               // 000000009F24: E0511000 80030027
	s_add_u32 m0, m0, 0x100                                    // 000000009F2C: 807CFF7C 00000100
	buffer_load_dword v40, s[12:15], 0 offen lds               // 000000009F34: E0511000 80030028
	s_add_u32 m0, m0, 0x100                                    // 000000009F3C: 807CFF7C 00000100
	s_add_u32 s12, s74, s12                                    // 000000009F44: 800C0C4A
	s_addc_u32 s13, 0, s13                                     // 000000009F48: 820D0D80
	buffer_load_dword v39, s[12:15], 0 offen lds               // 000000009F4C: E0511000 80030027
	s_add_u32 m0, m0, 0x100                                    // 000000009F54: 807CFF7C 00000100
	buffer_load_dword v40, s[12:15], 0 offen lds               // 000000009F5C: E0511000 80030028
	s_mul_i32 s60, 4, 0x420                                    // 000000009F64: 923CFF84 00000420
	s_mul_i32 s61, s7, 0x420                                   // 000000009F6C: 923DFF07 00000420
	s_add_u32 m0, s60, s61                                     // 000000009F74: 807C3D3C
	s_add_u32 s12, s74, s12                                    // 000000009F78: 800C0C4A
	s_addc_u32 s13, 0, s13                                     // 000000009F7C: 820D0D80

0000000000009f80 <label_1F61>:
	s_mul_i32 s61, s2, s76                                     // 000000009F80: 923D4C02
	s_mul_i32 s60, s84, s75                                    // 000000009F84: 923C4B54
	s_add_u32 s60, s60, s61                                    // 000000009F88: 803C3D3C
	s_add_u32 s8, s60, s8                                      // 000000009F8C: 8008083C
	s_addc_u32 s9, 0, s9                                       // 000000009F90: 82090980
	s_mul_i32 s60, s7, 0x100                                   // 000000009F94: 923CFF07 00000100
	v_lshlrev_b32_e32 v8, 2, v0                                // 000000009F9C: 24100082
	v_add_u32_e64 v8, v8, s60                                  // 000000009FA0: D1340008 00007908
	s_mov_b32 s70, 0                                           // 000000009FA8: BEC60080
	s_and_b32 s71, s72, 0xffffff00                             // 000000009FAC: 8647FF48 FFFFFF00
	v_mov_b32_e32 v54, s68                                     // 000000009FB4: 7E6C0244
	v_mov_b32_e32 v9, -1                                       // 000000009FB8: 7E1202C1
	s_mov_b32 s52, 0x7060302                                   // 000000009FBC: BEB400FF 07060302
	s_mov_b32 s53, 0x400                                       // 000000009FC4: BEB500FF 00000400
	s_mov_b32 s54, 0x40100                                     // 000000009FCC: BEB600FF 00040100
	s_mov_b32 s55, 0x4020100                                   // 000000009FD4: BEB700FF 04020100
	v_mov_b32_dpp v9, v9 row_shl:8 row_mask:0xf bank_mask:0xf bound_ctrl:1// 000000009FDC: 7E1202FA FF090809
	s_mov_b32 s6, 0x3fb8aa3b                                   // 000000009FE4: BE8600FF 3FB8AA3B
	v_mov_b32_e32 v14, 0xff800000                              // 000000009FEC: 7E1C02FF FF800000
	v_mov_b32_e32 v15, 0xff800000                              // 000000009FF4: 7E1E02FF FF800000
	v_mov_b32_e32 v55, 0xff800000                              // 000000009FFC: 7E6E02FF FF800000
	v_mov_b32_e32 v51, 0                                       // 00000000A004: 7E660280
	v_mov_b32_e32 v52, 0                                       // 00000000A008: 7E680280
	v_mov_b32_e32 v43, 0                                       // 00000000A00C: 7E560280
	v_mov_b32_e32 v44, 0                                       // 00000000A010: 7E580280
	v_mov_b32_e32 v20, 0xffff0000                              // 00000000A014: 7E2802FF FFFF0000
	v_mov_b32_e32 v21, 0x7fff0000                              // 00000000A01C: 7E2A02FF 7FFF0000
	v_mov_b32_e32 v22, 0x7fff                                  // 00000000A024: 7E2C02FF 00007FFF
	v_add_u32_e32 v1, s56, v1                                  // 00000000A02C: 68020238
	v_and_b32_e32 v10, 15, v0                                  // 00000000A030: 2614008F
	v_lshlrev_b32_e32 v10, 2, v10                              // 00000000A034: 24141482
	v_lshlrev_b32_e32 v11, 2, v0                               // 00000000A038: 24160082
	s_mul_i32 s60, 0x100, s7                                   // 00000000A03C: 923C07FF 00000100
	v_add_u32_e32 v11, s60, v11                                // 00000000A044: 6816163C
	v_lshrrev_b32_e32 v39, 4, v0                               // 00000000A048: 204E0084
	v_lshlrev_b32_e32 v40, 6, v39                              // 00000000A04C: 24504E86
	v_and_b32_e32 v39, 15, v0                                  // 00000000A050: 264E008F
	v_lshlrev_b32_e32 v39, 1, v39                              // 00000000A054: 244E4E81
	v_add_u32_e32 v40, v39, v40                                // 00000000A058: 68505127
	v_lshlrev_b32_e32 v12, 2, v40                              // 00000000A05C: 24185082
	v_lshlrev_b32_e32 v39, 3, v0                               // 00000000A060: 244E0083
	s_mul_i32 s60, 0x200, s7                                   // 00000000A064: 923C07FF 00000200
	v_add_u32_e64 v13, v39, s60                                // 00000000A06C: D134000D 00007927
	v_lshlrev_b32_e32 v6, 4, v0                                // 00000000A074: 240C0084
	s_mul_i32 s60, s2, s69                                     // 00000000A078: 923C4502
	s_add_u32 s16, s60, s16                                    // 00000000A07C: 8010103C
	s_addc_u32 s17, 0, s17                                     // 00000000A080: 82111180
	v_and_b32_e32 v39, 15, v0                                  // 00000000A084: 264E008F
	v_lshlrev_b32_e32 v7, 4, v39                               // 00000000A088: 240E4E84
	v_and_b32_e32 v39, 31, v0                                  // 00000000A08C: 264E009F
	v_lshrrev_b32_e32 v39, 4, v39                              // 00000000A090: 204E4E84
	v_mul_i32_i24_e32 v39, 0x800, v39                          // 00000000A094: 0C4E4EFF 00000800
	v_add_u32_e32 v7, v39, v7                                  // 00000000A09C: 680E0F27
	s_mul_i32 s61, s2, s69                                     // 00000000A0A0: 923D4502
	s_mul_i32 s60, s7, 0x100                                   // 00000000A0A4: 923CFF07 00000100
	s_add_u32 s60, s60, s61                                    // 00000000A0AC: 803C3D3C
	s_add_u32 s20, s60, s20                                    // 00000000A0B0: 8014143C
	s_addc_u32 s21, 0, s21                                     // 00000000A0B4: 82151580
	s_waitcnt vmcnt(4)                                         // 00000000A0B8: BF8C0F74
	v_mul_u32_u24_dpp v39, v17, v54 row_newbcast:0 row_mask:0xf bank_mask:0xf// 00000000A0BC: 104E6CFA FF015011
	v_mul_u32_u24_dpp v40, v17, v54 row_newbcast:4 row_mask:0xf bank_mask:0xf// 00000000A0C4: 10506CFA FF015411
	v_mul_u32_u24_dpp v41, v17, v54 row_newbcast:8 row_mask:0xf bank_mask:0xf// 00000000A0CC: 10526CFA FF015811
	v_mul_u32_u24_dpp v42, v17, v54 row_newbcast:12 row_mask:0xf bank_mask:0xf// 00000000A0D4: 10546CFA FF015C11
	v_add_u32_e32 v23, v39, v6                                 // 00000000A0DC: 682E0D27
	v_add_u32_e32 v24, v40, v6                                 // 00000000A0E0: 68300D28
	v_add_u32_e32 v25, v41, v6                                 // 00000000A0E4: 68320D29
	v_add_u32_e32 v26, v42, v6                                 // 00000000A0E8: 68340D2A
	v_mul_u32_u24_dpp v39, v17, v54 row_newbcast:1 row_mask:0xf bank_mask:0xf// 00000000A0EC: 104E6CFA FF015111
	v_mul_u32_u24_dpp v40, v17, v54 row_newbcast:2 row_mask:0xf bank_mask:0xf// 00000000A0F4: 10506CFA FF015211
	v_mul_u32_u24_dpp v41, v17, v54 row_newbcast:5 row_mask:0xf bank_mask:0xf// 00000000A0FC: 10526CFA FF015511
	v_mul_u32_u24_dpp v42, v17, v54 row_newbcast:6 row_mask:0xf bank_mask:0xf// 00000000A104: 10546CFA FF015611
	v_add_u32_e32 v192, v39, v7                                // 00000000A10C: 69800F27
	v_add_u32_e32 v193, v40, v7                                // 00000000A110: 69820F28
	v_add_u32_e32 v194, v41, v7                                // 00000000A114: 69840F29
	v_add_u32_e32 v195, v42, v7                                // 00000000A118: 69860F2A
	v_mul_u32_u24_dpp v39, v17, v54 row_newbcast:9 row_mask:0xf bank_mask:0xf// 00000000A11C: 104E6CFA FF015911
	v_mul_u32_u24_dpp v40, v17, v54 row_newbcast:10 row_mask:0xf bank_mask:0xf// 00000000A124: 10506CFA FF015A11
	v_mul_u32_u24_dpp v41, v17, v54 row_newbcast:13 row_mask:0xf bank_mask:0xf// 00000000A12C: 10526CFA FF015D11
	v_mul_u32_u24_dpp v42, v17, v54 row_newbcast:7 row_mask:0xf bank_mask:0xf// 00000000A134: 10546CFA FF015711
	v_add_u32_e32 v196, v39, v7                                // 00000000A13C: 69880F27
	v_add_u32_e32 v197, v40, v7                                // 00000000A140: 698A0F28
	v_add_u32_e32 v198, v41, v7                                // 00000000A144: 698C0F29
	v_add_u32_e32 v199, v42, v7                                // 00000000A148: 698E0F2A
	buffer_load_dwordx4 a[0:3], v23, s[16:19], 0 offen         // 00000000A14C: E05C1000 80840017
	buffer_load_dwordx4 a[4:7], v23, s[16:19], 0 offen offset:1024// 00000000A154: E05C1400 80840417
	buffer_load_dwordx4 a[8:11], v23, s[16:19], 0 offen offset:2048// 00000000A15C: E05C1800 80840817
	buffer_load_dwordx4 a[12:15], v23, s[16:19], 0 offen offset:3072// 00000000A164: E05C1C00 80840C17
	buffer_load_dwordx4 a[16:19], v24, s[16:19], 0 offen       // 00000000A16C: E05C1000 80841018
	buffer_load_dwordx4 a[20:23], v24, s[16:19], 0 offen offset:1024// 00000000A174: E05C1400 80841418
	buffer_load_dwordx4 a[24:27], v24, s[16:19], 0 offen offset:2048// 00000000A17C: E05C1800 80841818
	buffer_load_dwordx4 a[28:31], v24, s[16:19], 0 offen offset:3072// 00000000A184: E05C1C00 80841C18
	buffer_load_dwordx4 a[32:35], v25, s[16:19], 0 offen       // 00000000A18C: E05C1000 80842019
	buffer_load_dwordx4 a[36:39], v25, s[16:19], 0 offen offset:1024// 00000000A194: E05C1400 80842419
	buffer_load_dwordx4 a[40:43], v25, s[16:19], 0 offen offset:2048// 00000000A19C: E05C1800 80842819
	buffer_load_dwordx4 a[44:47], v25, s[16:19], 0 offen offset:3072// 00000000A1A4: E05C1C00 80842C19
	buffer_load_dwordx4 a[48:51], v26, s[16:19], 0 offen       // 00000000A1AC: E05C1000 8084301A
	buffer_load_dwordx4 a[52:55], v26, s[16:19], 0 offen offset:1024// 00000000A1B4: E05C1400 8084341A
	buffer_load_dwordx4 a[56:59], v26, s[16:19], 0 offen offset:2048// 00000000A1BC: E05C1800 8084381A
	buffer_load_dwordx4 a[60:63], v26, s[16:19], 0 offen offset:3072// 00000000A1C4: E05C1C00 80843C1A
	buffer_load_dwordx4 a[128:131], v192, s[20:23], 0 offen    // 00000000A1CC: E05C1000 808580C0
	buffer_load_dwordx4 a[132:135], v193, s[20:23], 0 offen    // 00000000A1D4: E05C1000 808584C1
	buffer_load_dwordx4 a[136:139], v194, s[20:23], 0 offen    // 00000000A1DC: E05C1000 808588C2
	buffer_load_dwordx4 a[140:143], v195, s[20:23], 0 offen    // 00000000A1E4: E05C1000 80858CC3
	buffer_load_dwordx4 a[144:147], v196, s[20:23], 0 offen    // 00000000A1EC: E05C1000 808590C4
	buffer_load_dwordx4 a[148:151], v197, s[20:23], 0 offen    // 00000000A1F4: E05C1000 808594C5
	buffer_load_dwordx4 a[152:155], v198, s[20:23], 0 offen    // 00000000A1FC: E05C1000 808598C6
	buffer_load_dwordx4 a[156:159], v199, s[20:23], 0 offen    // 00000000A204: E05C1000 80859CC7
	buffer_load_dwordx4 a[160:163], v192, s[20:23], 0 offen offset:1024// 00000000A20C: E05C1400 8085A0C0
	buffer_load_dwordx4 a[164:167], v193, s[20:23], 0 offen offset:1024// 00000000A214: E05C1400 8085A4C1
	buffer_load_dwordx4 a[168:171], v194, s[20:23], 0 offen offset:1024// 00000000A21C: E05C1400 8085A8C2
	buffer_load_dwordx4 a[172:175], v195, s[20:23], 0 offen offset:1024// 00000000A224: E05C1400 8085ACC3
	buffer_load_dwordx4 a[176:179], v196, s[20:23], 0 offen offset:1024// 00000000A22C: E05C1400 8085B0C4
	buffer_load_dwordx4 a[180:183], v197, s[20:23], 0 offen offset:1024// 00000000A234: E05C1400 8085B4C5
	buffer_load_dwordx4 a[184:187], v198, s[20:23], 0 offen offset:1024// 00000000A23C: E05C1400 8085B8C6
	buffer_load_dwordx4 a[188:191], v199, s[20:23], 0 offen offset:1024// 00000000A244: E05C1400 8085BCC7
	v_lshrrev_b32_e32 v39, 4, v0                               // 00000000A24C: 204E0084
	v_lshlrev_b32_e32 v40, 2, v39                              // 00000000A250: 24504E82
	v_and_b32_e32 v39, 15, v0                                  // 00000000A254: 264E008F
	v_lshrrev_b32_e32 v41, 2, v39                              // 00000000A258: 20524E82
	v_lshlrev_b32_e32 v41, 6, v41                              // 00000000A25C: 24525286
	v_add_u32_e32 v40, v41, v40                                // 00000000A260: 68505129
	v_and_b32_e32 v39, 3, v0                                   // 00000000A264: 264E0083
	v_mul_i32_i24_e32 v41, 0x108, v39                          // 00000000A268: 0C524EFF 00000108
	v_add_u32_e32 v40, v41, v40                                // 00000000A270: 68505129
	v_lshlrev_b32_e32 v4, 2, v40                               // 00000000A274: 24085082
	s_waitcnt vmcnt(32) lgkmcnt(0)                             // 00000000A278: BF8C8070
	s_barrier                                                  // 00000000A27C: BF8A0000
	ds_read_b128 v[80:83], v4                                  // 00000000A280: D9FE0000 50000004
	ds_read_b128 v[84:87], v4 offset:64                        // 00000000A288: D9FE0040 54000004
	ds_read_b128 v[88:91], v4 offset:128                       // 00000000A290: D9FE0080 58000004
	ds_read_b128 v[92:95], v4 offset:192                       // 00000000A298: D9FE00C0 5C000004
	v_mov_b32_e32 v176, 0                                      // 00000000A2A0: 7F600280
	v_mov_b32_e32 v177, 0                                      // 00000000A2A4: 7F620280
	v_mov_b32_e32 v178, 0                                      // 00000000A2A8: 7F640280
	v_mov_b32_e32 v179, 0                                      // 00000000A2AC: 7F660280
	v_mov_b32_e32 v180, 0                                      // 00000000A2B0: 7F680280
	v_mov_b32_e32 v181, 0                                      // 00000000A2B4: 7F6A0280
	v_mov_b32_e32 v182, 0                                      // 00000000A2B8: 7F6C0280
	v_mov_b32_e32 v183, 0                                      // 00000000A2BC: 7F6E0280
	ds_read_b128 v[96:99], v4 offset:4224                      // 00000000A2C0: D9FE1080 60000004
	ds_read_b128 v[100:103], v4 offset:4288                    // 00000000A2C8: D9FE10C0 64000004
	ds_read_b128 v[104:107], v4 offset:4352                    // 00000000A2D0: D9FE1100 68000004
	ds_read_b128 v[108:111], v4 offset:4416                    // 00000000A2D8: D9FE1140 6C000004
	v_mov_b32_e32 v184, 0                                      // 00000000A2E0: 7F700280
	v_mov_b32_e32 v185, 0                                      // 00000000A2E4: 7F720280
	v_mov_b32_e32 v186, 0                                      // 00000000A2E8: 7F740280
	v_mov_b32_e32 v187, 0                                      // 00000000A2EC: 7F760280
	v_mov_b32_e32 v188, 0                                      // 00000000A2F0: 7F780280
	v_mov_b32_e32 v189, 0                                      // 00000000A2F4: 7F7A0280
	v_mov_b32_e32 v190, 0                                      // 00000000A2F8: 7F7C0280
	v_mov_b32_e32 v191, 0                                      // 00000000A2FC: 7F7E0280
	s_waitcnt vmcnt(16) lgkmcnt(0)                             // 00000000A300: BF8C4070
	s_barrier                                                  // 00000000A304: BF8A0000
	v_mul_u32_u24_dpp v39, v18, v54 row_newbcast:0 row_mask:0xf bank_mask:0xf// 00000000A308: 104E6CFA FF015012
	v_mul_u32_u24_dpp v40, v18, v54 row_newbcast:4 row_mask:0xf bank_mask:0xf// 00000000A310: 10506CFA FF015412
	v_mul_u32_u24_dpp v41, v18, v54 row_newbcast:8 row_mask:0xf bank_mask:0xf// 00000000A318: 10526CFA FF015812
	v_mul_u32_u24_dpp v42, v18, v54 row_newbcast:12 row_mask:0xf bank_mask:0xf// 00000000A320: 10546CFA FF015C12
	v_add_u32_e32 v27, v39, v6                                 // 00000000A328: 68360D27
	v_add_u32_e32 v28, v40, v6                                 // 00000000A32C: 68380D28
	v_add_u32_e32 v29, v41, v6                                 // 00000000A330: 683A0D29
	v_add_u32_e32 v30, v42, v6                                 // 00000000A334: 683C0D2A
	v_mul_u32_u24_dpp v39, v18, v54 row_newbcast:1 row_mask:0xf bank_mask:0xf// 00000000A338: 104E6CFA FF015112
	v_mul_u32_u24_dpp v40, v18, v54 row_newbcast:2 row_mask:0xf bank_mask:0xf// 00000000A340: 10506CFA FF015212
	v_mul_u32_u24_dpp v41, v18, v54 row_newbcast:5 row_mask:0xf bank_mask:0xf// 00000000A348: 10526CFA FF015512
	v_mul_u32_u24_dpp v42, v18, v54 row_newbcast:6 row_mask:0xf bank_mask:0xf// 00000000A350: 10546CFA FF015612
	v_add_u32_e32 v200, v39, v7                                // 00000000A358: 69900F27
	v_add_u32_e32 v201, v40, v7                                // 00000000A35C: 69920F28
	v_add_u32_e32 v202, v41, v7                                // 00000000A360: 69940F29
	v_add_u32_e32 v203, v42, v7                                // 00000000A364: 69960F2A
	v_mul_u32_u24_dpp v39, v18, v54 row_newbcast:9 row_mask:0xf bank_mask:0xf// 00000000A368: 104E6CFA FF015912
	v_mul_u32_u24_dpp v40, v18, v54 row_newbcast:10 row_mask:0xf bank_mask:0xf// 00000000A370: 10506CFA FF015A12
	v_mul_u32_u24_dpp v41, v18, v54 row_newbcast:13 row_mask:0xf bank_mask:0xf// 00000000A378: 10526CFA FF015D12
	v_mul_u32_u24_dpp v42, v18, v54 row_newbcast:7 row_mask:0xf bank_mask:0xf// 00000000A380: 10546CFA FF015712
	v_add_u32_e32 v204, v39, v7                                // 00000000A388: 69980F27
	v_add_u32_e32 v205, v40, v7                                // 00000000A38C: 699A0F28
	v_add_u32_e32 v206, v41, v7                                // 00000000A390: 699C0F29
	v_add_u32_e32 v207, v42, v7                                // 00000000A394: 699E0F2A
	s_cmp_lt_u32 s73, 16                                       // 00000000A398: BF0A9049
	s_cbranch_scc1 label_2FEF                                  // 00000000A39C: BF850F86
	s_cmp_lt_i32 s7, 2                                         // 00000000A3A0: BF048207
	s_cbranch_scc0 label_282D                                  // 00000000A3A4: BF8407C2

000000000000a3a8 <label_206B>:
	s_waitcnt vmcnt(16) lgkmcnt(0)                             // 00000000A3A8: BF8C4070
	v_mfma_f32_16x16x16_bf16 v[112:115], a[0:1], v[80:81], 0   // 00000000A3AC: D3E10070 0A02A100
	v_mfma_f32_16x16x16_bf16 v[112:115], a[2:3], v[82:83], v[112:115]// 00000000A3B4: D3E10070 0DC2A502
	buffer_load_dwordx4 a[64:67], v27, s[16:19], 0 offen       // 00000000A3BC: E05C1000 8084401B
	v_mfma_f32_16x16x16_bf16 v[112:115], a[4:5], v[84:85], v[112:115]// 00000000A3C4: D3E10070 0DC2A904
	v_mfma_f32_16x16x16_bf16 v[112:115], a[6:7], v[86:87], v[112:115]// 00000000A3CC: D3E10070 0DC2AD06
	buffer_load_dword v17, v1, s[24:27], 0 offen               // 00000000A3D4: E0501000 80061101
	v_mfma_f32_16x16x16_bf16 v[112:115], a[8:9], v[88:89], v[112:115]// 00000000A3DC: D3E10070 0DC2B108
	v_mfma_f32_16x16x16_bf16 v[112:115], a[10:11], v[90:91], v[112:115]// 00000000A3E4: D3E10070 0DC2B50A
	buffer_load_dwordx4 a[68:71], v27, s[16:19], 0 offen offset:1024// 00000000A3EC: E05C1400 8084441B
	v_mfma_f32_16x16x16_bf16 v[112:115], a[12:13], v[92:93], v[112:115]// 00000000A3F4: D3E10070 0DC2B90C
	v_mfma_f32_16x16x16_bf16 v[112:115], a[14:15], v[94:95], v[112:115]// 00000000A3FC: D3E10070 0DC2BD0E
	v_mfma_f32_16x16x16_bf16 v[116:119], a[16:17], v[80:81], 0 // 00000000A404: D3E10074 0A02A110
	v_mfma_f32_16x16x16_bf16 v[116:119], a[18:19], v[82:83], v[116:119]// 00000000A40C: D3E10074 0DD2A512
	buffer_load_dwordx4 a[72:75], v27, s[16:19], 0 offen offset:2048// 00000000A414: E05C1800 8084481B
	v_mfma_f32_16x16x16_bf16 v[116:119], a[20:21], v[84:85], v[116:119]// 00000000A41C: D3E10074 0DD2A914
	v_mfma_f32_16x16x16_bf16 v[116:119], a[22:23], v[86:87], v[116:119]// 00000000A424: D3E10074 0DD2AD16
	v_mfma_f32_16x16x16_bf16 v[116:119], a[24:25], v[88:89], v[116:119]// 00000000A42C: D3E10074 0DD2B118
	v_mfma_f32_16x16x16_bf16 v[116:119], a[26:27], v[90:91], v[116:119]// 00000000A434: D3E10074 0DD2B51A
	buffer_load_dwordx4 a[76:79], v27, s[16:19], 0 offen offset:3072// 00000000A43C: E05C1C00 80844C1B
	v_mfma_f32_16x16x16_bf16 v[116:119], a[28:29], v[92:93], v[116:119]// 00000000A444: D3E10074 0DD2B91C
	v_mfma_f32_16x16x16_bf16 v[116:119], a[30:31], v[94:95], v[116:119]// 00000000A44C: D3E10074 0DD2BD1E
	v_mfma_f32_16x16x16_bf16 v[120:123], a[32:33], v[80:81], 0 // 00000000A454: D3E10078 0A02A120
	v_mfma_f32_16x16x16_bf16 v[120:123], a[34:35], v[82:83], v[120:123]// 00000000A45C: D3E10078 0DE2A522
	buffer_load_dwordx4 a[80:83], v28, s[16:19], 0 offen       // 00000000A464: E05C1000 8084501C
	v_mfma_f32_16x16x16_bf16 v[120:123], a[36:37], v[84:85], v[120:123]// 00000000A46C: D3E10078 0DE2A924
	v_mfma_f32_16x16x16_bf16 v[120:123], a[38:39], v[86:87], v[120:123]// 00000000A474: D3E10078 0DE2AD26
	v_mfma_f32_16x16x16_bf16 v[120:123], a[40:41], v[88:89], v[120:123]// 00000000A47C: D3E10078 0DE2B128
	v_mfma_f32_16x16x16_bf16 v[120:123], a[42:43], v[90:91], v[120:123]// 00000000A484: D3E10078 0DE2B52A
	buffer_load_dwordx4 a[84:87], v28, s[16:19], 0 offen offset:1024// 00000000A48C: E05C1400 8084541C
	v_mfma_f32_16x16x16_bf16 v[120:123], a[44:45], v[92:93], v[120:123]// 00000000A494: D3E10078 0DE2B92C
	v_mfma_f32_16x16x16_bf16 v[120:123], a[46:47], v[94:95], v[120:123]// 00000000A49C: D3E10078 0DE2BD2E
	v_mfma_f32_16x16x16_bf16 v[124:127], a[48:49], v[80:81], 0 // 00000000A4A4: D3E1007C 0A02A130
	v_mfma_f32_16x16x16_bf16 v[124:127], a[50:51], v[82:83], v[124:127]// 00000000A4AC: D3E1007C 0DF2A532
	buffer_load_dwordx4 a[88:91], v28, s[16:19], 0 offen offset:2048// 00000000A4B4: E05C1800 8084581C
	v_mfma_f32_16x16x16_bf16 v[124:127], a[52:53], v[84:85], v[124:127]// 00000000A4BC: D3E1007C 0DF2A934
	v_mfma_f32_16x16x16_bf16 v[124:127], a[54:55], v[86:87], v[124:127]// 00000000A4C4: D3E1007C 0DF2AD36
	v_mfma_f32_16x16x16_bf16 v[124:127], a[56:57], v[88:89], v[124:127]// 00000000A4CC: D3E1007C 0DF2B138
	v_mfma_f32_16x16x16_bf16 v[124:127], a[58:59], v[90:91], v[124:127]// 00000000A4D4: D3E1007C 0DF2B53A
	buffer_load_dwordx4 a[92:95], v28, s[16:19], 0 offen offset:3072// 00000000A4DC: E05C1C00 80845C1C
	v_mfma_f32_16x16x16_bf16 v[124:127], a[60:61], v[92:93], v[124:127]// 00000000A4E4: D3E1007C 0DF2B93C
	v_mfma_f32_16x16x16_bf16 v[124:127], a[62:63], v[94:95], v[124:127]// 00000000A4EC: D3E1007C 0DF2BD3E
	s_waitcnt vmcnt(16) lgkmcnt(0)                             // 00000000A4F4: BF8C4070
	v_mfma_f32_16x16x16_bf16 v[144:147], a[0:1], v[96:97], 0   // 00000000A4F8: D3E10090 0A02C100
	v_mfma_f32_16x16x16_bf16 v[144:147], a[2:3], v[98:99], v[144:147]// 00000000A500: D3E10090 0E42C502
	v_mfma_f32_16x16x16_bf16 v[144:147], a[4:5], v[100:101], v[144:147]// 00000000A508: D3E10090 0E42C904
	v_mfma_f32_16x16x16_bf16 v[144:147], a[6:7], v[102:103], v[144:147]// 00000000A510: D3E10090 0E42CD06
	v_mfma_f32_16x16x16_bf16 v[144:147], a[8:9], v[104:105], v[144:147]// 00000000A518: D3E10090 0E42D108
	v_mfma_f32_16x16x16_bf16 v[144:147], a[10:11], v[106:107], v[144:147]// 00000000A520: D3E10090 0E42D50A
	v_mfma_f32_16x16x16_bf16 v[144:147], a[12:13], v[108:109], v[144:147]// 00000000A528: D3E10090 0E42D90C
	v_mfma_f32_16x16x16_bf16 v[144:147], a[14:15], v[110:111], v[144:147]// 00000000A530: D3E10090 0E42DD0E
	v_mfma_f32_16x16x16_bf16 v[148:151], a[16:17], v[96:97], 0 // 00000000A538: D3E10094 0A02C110
	v_mfma_f32_16x16x16_bf16 v[148:151], a[18:19], v[98:99], v[148:151]// 00000000A540: D3E10094 0E52C512
	v_mfma_f32_16x16x16_bf16 v[148:151], a[20:21], v[100:101], v[148:151]// 00000000A548: D3E10094 0E52C914
	v_mfma_f32_16x16x16_bf16 v[148:151], a[22:23], v[102:103], v[148:151]// 00000000A550: D3E10094 0E52CD16
	v_mfma_f32_16x16x16_bf16 v[148:151], a[24:25], v[104:105], v[148:151]// 00000000A558: D3E10094 0E52D118
	v_mfma_f32_16x16x16_bf16 v[148:151], a[26:27], v[106:107], v[148:151]// 00000000A560: D3E10094 0E52D51A
	v_mfma_f32_16x16x16_bf16 v[148:151], a[28:29], v[108:109], v[148:151]// 00000000A568: D3E10094 0E52D91C
	v_mfma_f32_16x16x16_bf16 v[148:151], a[30:31], v[110:111], v[148:151]// 00000000A570: D3E10094 0E52DD1E
	v_mfma_f32_16x16x16_bf16 v[152:155], a[32:33], v[96:97], 0 // 00000000A578: D3E10098 0A02C120
	v_mfma_f32_16x16x16_bf16 v[152:155], a[34:35], v[98:99], v[152:155]// 00000000A580: D3E10098 0E62C522
	v_mfma_f32_16x16x16_bf16 v[152:155], a[36:37], v[100:101], v[152:155]// 00000000A588: D3E10098 0E62C924
	v_mfma_f32_16x16x16_bf16 v[152:155], a[38:39], v[102:103], v[152:155]// 00000000A590: D3E10098 0E62CD26
	v_mfma_f32_16x16x16_bf16 v[152:155], a[40:41], v[104:105], v[152:155]// 00000000A598: D3E10098 0E62D128
	v_mfma_f32_16x16x16_bf16 v[152:155], a[42:43], v[106:107], v[152:155]// 00000000A5A0: D3E10098 0E62D52A
	v_mfma_f32_16x16x16_bf16 v[152:155], a[44:45], v[108:109], v[152:155]// 00000000A5A8: D3E10098 0E62D92C
	v_mfma_f32_16x16x16_bf16 v[152:155], a[46:47], v[110:111], v[152:155]// 00000000A5B0: D3E10098 0E62DD2E
	v_mfma_f32_16x16x16_bf16 v[156:159], a[48:49], v[96:97], 0 // 00000000A5B8: D3E1009C 0A02C130
	v_mfma_f32_16x16x16_bf16 v[156:159], a[50:51], v[98:99], v[156:159]// 00000000A5C0: D3E1009C 0E72C532
	v_mfma_f32_16x16x16_bf16 v[156:159], a[52:53], v[100:101], v[156:159]// 00000000A5C8: D3E1009C 0E72C934
	v_mfma_f32_16x16x16_bf16 v[156:159], a[54:55], v[102:103], v[156:159]// 00000000A5D0: D3E1009C 0E72CD36
	v_mfma_f32_16x16x16_bf16 v[156:159], a[56:57], v[104:105], v[156:159]// 00000000A5D8: D3E1009C 0E72D138
	v_mfma_f32_16x16x16_bf16 v[156:159], a[58:59], v[106:107], v[156:159]// 00000000A5E0: D3E1009C 0E72D53A
	v_mfma_f32_16x16x16_bf16 v[156:159], a[60:61], v[108:109], v[156:159]// 00000000A5E8: D3E1009C 0E72D93C
	v_mfma_f32_16x16x16_bf16 v[156:159], a[62:63], v[110:111], v[156:159]// 00000000A5F0: D3E1009C 0E72DD3E
	buffer_load_dwordx4 a[96:99], v29, s[16:19], 0 offen       // 00000000A5F8: E05C1000 8084601D
	s_nop 8                                                    // 00000000A600: BF800008
	buffer_load_dwordx4 a[100:103], v29, s[16:19], 0 offen offset:1024// 00000000A604: E05C1400 8084641D
	v_mov_b32_e32 v50, v112                                    // 00000000A60C: 7E640370
	v_max3_f32 v50, v112, v113, v50                            // 00000000A610: D1D30032 04CAE370
	v_max3_f32 v50, v114, v115, v50                            // 00000000A618: D1D30032 04CAE772
	v_max3_f32 v50, v116, v117, v50                            // 00000000A620: D1D30032 04CAEB74
	v_max3_f32 v50, v118, v119, v50                            // 00000000A628: D1D30032 04CAEF76
	v_max3_f32 v50, v120, v121, v50                            // 00000000A630: D1D30032 04CAF378
	v_max3_f32 v50, v122, v123, v50                            // 00000000A638: D1D30032 04CAF77A
	v_max3_f32 v50, v124, v125, v50                            // 00000000A640: D1D30032 04CAFB7C
	v_max3_f32 v50, v126, v127, v50                            // 00000000A648: D1D30032 04CAFF7E
	ds_write_b32 v11, v50                                      // 00000000A650: D81A0000 0000320B
	buffer_load_dwordx4 a[104:107], v29, s[16:19], 0 offen offset:2048// 00000000A658: E05C1800 8084681D
	s_waitcnt lgkmcnt(0)                                       // 00000000A660: BF8CC07F
	s_barrier                                                  // 00000000A664: BF8A0000
	ds_read_b32 v64, v10                                       // 00000000A668: D86C0000 4000000A
	buffer_load_dwordx4 a[108:111], v29, s[16:19], 0 offen offset:3072// 00000000A670: E05C1C00 80846C1D
	ds_read_b32 v65, v10 offset:64                             // 00000000A678: D86C0040 4100000A
	ds_read_b32 v66, v10 offset:128                            // 00000000A680: D86C0080 4200000A
	ds_read_b32 v67, v10 offset:192                            // 00000000A688: D86C00C0 4300000A
	ds_read_b32 v68, v10 offset:256                            // 00000000A690: D86C0100 4400000A
	ds_read_b32 v69, v10 offset:320                            // 00000000A698: D86C0140 4500000A
	ds_read_b32 v70, v10 offset:384                            // 00000000A6A0: D86C0180 4600000A
	ds_read_b32 v71, v10 offset:448                            // 00000000A6A8: D86C01C0 4700000A
	ds_read_b32 v72, v10 offset:512                            // 00000000A6B0: D86C0200 4800000A
	buffer_load_dwordx4 a[112:115], v30, s[16:19], 0 offen     // 00000000A6B8: E05C1000 8084701E
	ds_read_b32 v73, v10 offset:576                            // 00000000A6C0: D86C0240 4900000A
	ds_read_b32 v74, v10 offset:640                            // 00000000A6C8: D86C0280 4A00000A
	ds_read_b32 v75, v10 offset:704                            // 00000000A6D0: D86C02C0 4B00000A
	ds_read_b32 v76, v10 offset:768                            // 00000000A6D8: D86C0300 4C00000A
	ds_read_b32 v77, v10 offset:832                            // 00000000A6E0: D86C0340 4D00000A
	ds_read_b32 v78, v10 offset:896                            // 00000000A6E8: D86C0380 4E00000A
	ds_read_b32 v79, v10 offset:960                            // 00000000A6F0: D86C03C0 4F00000A
	buffer_load_dwordx4 a[116:119], v30, s[16:19], 0 offen offset:1024// 00000000A6F8: E05C1400 8084741E
	buffer_load_dwordx4 a[120:123], v30, s[16:19], 0 offen offset:2048// 00000000A700: E05C1800 8084781E
	s_waitcnt lgkmcnt(0)                                       // 00000000A708: BF8CC07F
	v_max3_f32 v50, v64, v65, v50                              // 00000000A70C: D1D30032 04CA8340
	v_max3_f32 v50, v66, v67, v50                              // 00000000A714: D1D30032 04CA8742
	v_max3_f32 v50, v68, v69, v50                              // 00000000A71C: D1D30032 04CA8B44
	v_max3_f32 v50, v70, v71, v50                              // 00000000A724: D1D30032 04CA8F46
	v_max3_f32 v50, v72, v73, v50                              // 00000000A72C: D1D30032 04CA9348
	v_max3_f32 v50, v74, v75, v50                              // 00000000A734: D1D30032 04CA974A
	v_max3_f32 v50, v76, v77, v50                              // 00000000A73C: D1D30032 04CA9B4C
	v_max3_f32 v50, v78, v79, v50                              // 00000000A744: D1D30032 04CA9F4E
	buffer_load_dwordx4 a[124:127], v30, s[16:19], 0 offen offset:3072// 00000000A74C: E05C1C00 80847C1E
	v_cmp_eq_u32_e64 s[40:41], v55, v14                        // 00000000A754: D0CA0028 00021D37
	s_nop 1                                                    // 00000000A75C: BF800001
	v_max_f32_e32 v16, v50, v14                                // 00000000A760: 16201D32
	v_sub_f32_e32 v51, v14, v16                                // 00000000A764: 0466210E
	v_cndmask_b32_e64 v51, v51, 0, s[40:41]                    // 00000000A768: D1000033 00A10133
	v_mov_b32_e32 v14, v16                                     // 00000000A770: 7E1C0310
	v_mul_f32_e32 v53, s64, v16                                // 00000000A774: 0A6A2040
	v_mul_f32_e32 v51, s64, v51                                // 00000000A778: 0A666640
	v_exp_f32_e32 v51, v51                                     // 00000000A77C: 7E664133
	buffer_load_dwordx4 a[192:195], v200, s[20:23], 0 offen    // 00000000A780: E05C1000 8085C0C8
	v_fma_f32 v112, v112, s64, -v53                            // 00000000A788: D1CB0070 84D48170
	v_fma_f32 v113, v113, s64, -v53                            // 00000000A790: D1CB0071 84D48171
	v_fma_f32 v114, v114, s64, -v53                            // 00000000A798: D1CB0072 84D48172
	v_fma_f32 v115, v115, s64, -v53                            // 00000000A7A0: D1CB0073 84D48173
	v_fma_f32 v116, v116, s64, -v53                            // 00000000A7A8: D1CB0074 84D48174
	v_fma_f32 v117, v117, s64, -v53                            // 00000000A7B0: D1CB0075 84D48175
	v_fma_f32 v118, v118, s64, -v53                            // 00000000A7B8: D1CB0076 84D48176
	v_fma_f32 v119, v119, s64, -v53                            // 00000000A7C0: D1CB0077 84D48177
	v_fma_f32 v120, v120, s64, -v53                            // 00000000A7C8: D1CB0078 84D48178
	v_fma_f32 v121, v121, s64, -v53                            // 00000000A7D0: D1CB0079 84D48179
	v_fma_f32 v122, v122, s64, -v53                            // 00000000A7D8: D1CB007A 84D4817A
	v_fma_f32 v123, v123, s64, -v53                            // 00000000A7E0: D1CB007B 84D4817B
	v_fma_f32 v124, v124, s64, -v53                            // 00000000A7E8: D1CB007C 84D4817C
	v_fma_f32 v125, v125, s64, -v53                            // 00000000A7F0: D1CB007D 84D4817D
	v_fma_f32 v126, v126, s64, -v53                            // 00000000A7F8: D1CB007E 84D4817E
	v_fma_f32 v127, v127, s64, -v53                            // 00000000A800: D1CB007F 84D4817F
	v_exp_f32_e32 v112, v112                                   // 00000000A808: 7EE04170
	v_exp_f32_e32 v113, v113                                   // 00000000A80C: 7EE24171
	v_exp_f32_e32 v114, v114                                   // 00000000A810: 7EE44172
	v_exp_f32_e32 v115, v115                                   // 00000000A814: 7EE64173
	v_exp_f32_e32 v116, v116                                   // 00000000A818: 7EE84174
	v_exp_f32_e32 v117, v117                                   // 00000000A81C: 7EEA4175
	v_exp_f32_e32 v118, v118                                   // 00000000A820: 7EEC4176
	v_exp_f32_e32 v119, v119                                   // 00000000A824: 7EEE4177
	v_exp_f32_e32 v120, v120                                   // 00000000A828: 7EF04178
	v_exp_f32_e32 v121, v121                                   // 00000000A82C: 7EF24179
	v_exp_f32_e32 v122, v122                                   // 00000000A830: 7EF4417A
	v_exp_f32_e32 v123, v123                                   // 00000000A834: 7EF6417B
	v_exp_f32_e32 v124, v124                                   // 00000000A838: 7EF8417C
	v_exp_f32_e32 v125, v125                                   // 00000000A83C: 7EFA417D
	v_exp_f32_e32 v126, v126                                   // 00000000A840: 7EFC417E
	v_exp_f32_e32 v127, v127                                   // 00000000A844: 7EFE417F
	buffer_load_dwordx4 a[196:199], v201, s[20:23], 0 offen    // 00000000A848: E05C1000 8085C4C9
	v_mul_f32_e32 v43, v51, v43                                // 00000000A850: 0A565733
	v_mov_b32_e32 v45, v112                                    // 00000000A854: 7E5A0370
	v_add_f32_e32 v45, v113, v45                               // 00000000A858: 025A5B71
	v_add_f32_e32 v45, v114, v45                               // 00000000A85C: 025A5B72
	v_add_f32_e32 v45, v115, v45                               // 00000000A860: 025A5B73
	v_add_f32_e32 v45, v116, v45                               // 00000000A864: 025A5B74
	v_add_f32_e32 v45, v117, v45                               // 00000000A868: 025A5B75
	v_add_f32_e32 v45, v118, v45                               // 00000000A86C: 025A5B76
	v_add_f32_e32 v45, v119, v45                               // 00000000A870: 025A5B77
	v_add_f32_e32 v45, v120, v45                               // 00000000A874: 025A5B78
	v_add_f32_e32 v45, v121, v45                               // 00000000A878: 025A5B79
	v_add_f32_e32 v45, v122, v45                               // 00000000A87C: 025A5B7A
	v_add_f32_e32 v45, v123, v45                               // 00000000A880: 025A5B7B
	v_add_f32_e32 v45, v124, v45                               // 00000000A884: 025A5B7C
	v_add_f32_e32 v45, v125, v45                               // 00000000A888: 025A5B7D
	v_add_f32_e32 v45, v126, v45                               // 00000000A88C: 025A5B7E
	v_add_f32_e32 v45, v127, v45                               // 00000000A890: 025A5B7F
	v_add_f32_e32 v43, v45, v43                                // 00000000A894: 0256572D
	buffer_load_dwordx4 a[200:203], v202, s[20:23], 0 offen    // 00000000A898: E05C1000 8085C8CA
	v_cmp_u_f32_e64 s[40:41], v112, v112                       // 00000000A8A0: D0480028 0002E170
	v_add3_u32 v19, v112, v22, 1                               // 00000000A8A8: D1FF0013 02062D70
	v_cndmask_b32_e64 v39, v19, v21, s[40:41]                  // 00000000A8B0: D1000027 00A22B13
	v_cmp_u_f32_e64 s[40:41], v113, v113                       // 00000000A8B8: D0480028 0002E371
	v_add3_u32 v19, v113, v22, 1                               // 00000000A8C0: D1FF0013 02062D71
	v_cndmask_b32_e64 v40, v19, v21, s[40:41]                  // 00000000A8C8: D1000028 00A22B13
	v_perm_b32 v112, v40, v39, s52                             // 00000000A8D0: D1ED0070 00D24F28
	v_cmp_u_f32_e64 s[40:41], v114, v114                       // 00000000A8D8: D0480028 0002E572
	v_add3_u32 v19, v114, v22, 1                               // 00000000A8E0: D1FF0013 02062D72
	v_cndmask_b32_e64 v39, v19, v21, s[40:41]                  // 00000000A8E8: D1000027 00A22B13
	v_cmp_u_f32_e64 s[40:41], v115, v115                       // 00000000A8F0: D0480028 0002E773
	v_add3_u32 v19, v115, v22, 1                               // 00000000A8F8: D1FF0013 02062D73
	v_cndmask_b32_e64 v40, v19, v21, s[40:41]                  // 00000000A900: D1000028 00A22B13
	v_perm_b32 v113, v40, v39, s52                             // 00000000A908: D1ED0071 00D24F28
	v_cmp_u_f32_e64 s[40:41], v116, v116                       // 00000000A910: D0480028 0002E974
	v_add3_u32 v19, v116, v22, 1                               // 00000000A918: D1FF0013 02062D74
	v_cndmask_b32_e64 v39, v19, v21, s[40:41]                  // 00000000A920: D1000027 00A22B13
	v_cmp_u_f32_e64 s[40:41], v117, v117                       // 00000000A928: D0480028 0002EB75
	v_add3_u32 v19, v117, v22, 1                               // 00000000A930: D1FF0013 02062D75
	v_cndmask_b32_e64 v40, v19, v21, s[40:41]                  // 00000000A938: D1000028 00A22B13
	v_perm_b32 v114, v40, v39, s52                             // 00000000A940: D1ED0072 00D24F28
	v_cmp_u_f32_e64 s[40:41], v118, v118                       // 00000000A948: D0480028 0002ED76
	v_add3_u32 v19, v118, v22, 1                               // 00000000A950: D1FF0013 02062D76
	v_cndmask_b32_e64 v39, v19, v21, s[40:41]                  // 00000000A958: D1000027 00A22B13
	v_cmp_u_f32_e64 s[40:41], v119, v119                       // 00000000A960: D0480028 0002EF77
	v_add3_u32 v19, v119, v22, 1                               // 00000000A968: D1FF0013 02062D77
	v_cndmask_b32_e64 v40, v19, v21, s[40:41]                  // 00000000A970: D1000028 00A22B13
	v_perm_b32 v115, v40, v39, s52                             // 00000000A978: D1ED0073 00D24F28
	v_cmp_u_f32_e64 s[40:41], v120, v120                       // 00000000A980: D0480028 0002F178
	v_add3_u32 v19, v120, v22, 1                               // 00000000A988: D1FF0013 02062D78
	v_cndmask_b32_e64 v39, v19, v21, s[40:41]                  // 00000000A990: D1000027 00A22B13
	v_cmp_u_f32_e64 s[40:41], v121, v121                       // 00000000A998: D0480028 0002F379
	v_add3_u32 v19, v121, v22, 1                               // 00000000A9A0: D1FF0013 02062D79
	v_cndmask_b32_e64 v40, v19, v21, s[40:41]                  // 00000000A9A8: D1000028 00A22B13
	v_perm_b32 v116, v40, v39, s52                             // 00000000A9B0: D1ED0074 00D24F28
	v_cmp_u_f32_e64 s[40:41], v122, v122                       // 00000000A9B8: D0480028 0002F57A
	v_add3_u32 v19, v122, v22, 1                               // 00000000A9C0: D1FF0013 02062D7A
	v_cndmask_b32_e64 v39, v19, v21, s[40:41]                  // 00000000A9C8: D1000027 00A22B13
	v_cmp_u_f32_e64 s[40:41], v123, v123                       // 00000000A9D0: D0480028 0002F77B
	v_add3_u32 v19, v123, v22, 1                               // 00000000A9D8: D1FF0013 02062D7B
	v_cndmask_b32_e64 v40, v19, v21, s[40:41]                  // 00000000A9E0: D1000028 00A22B13
	v_perm_b32 v117, v40, v39, s52                             // 00000000A9E8: D1ED0075 00D24F28
	v_cmp_u_f32_e64 s[40:41], v124, v124                       // 00000000A9F0: D0480028 0002F97C
	v_add3_u32 v19, v124, v22, 1                               // 00000000A9F8: D1FF0013 02062D7C
	v_cndmask_b32_e64 v39, v19, v21, s[40:41]                  // 00000000AA00: D1000027 00A22B13
	v_cmp_u_f32_e64 s[40:41], v125, v125                       // 00000000AA08: D0480028 0002FB7D
	v_add3_u32 v19, v125, v22, 1                               // 00000000AA10: D1FF0013 02062D7D
	v_cndmask_b32_e64 v40, v19, v21, s[40:41]                  // 00000000AA18: D1000028 00A22B13
	v_perm_b32 v118, v40, v39, s52                             // 00000000AA20: D1ED0076 00D24F28
	v_cmp_u_f32_e64 s[40:41], v126, v126                       // 00000000AA28: D0480028 0002FD7E
	v_add3_u32 v19, v126, v22, 1                               // 00000000AA30: D1FF0013 02062D7E
	v_cndmask_b32_e64 v39, v19, v21, s[40:41]                  // 00000000AA38: D1000027 00A22B13
	v_cmp_u_f32_e64 s[40:41], v127, v127                       // 00000000AA40: D0480028 0002FF7F
	v_add3_u32 v19, v127, v22, 1                               // 00000000AA48: D1FF0013 02062D7F
	v_cndmask_b32_e64 v40, v19, v21, s[40:41]                  // 00000000AA50: D1000028 00A22B13
	v_perm_b32 v119, v40, v39, s52                             // 00000000AA58: D1ED0077 00D24F28
	buffer_load_dwordx4 a[204:207], v203, s[20:23], 0 offen    // 00000000AA60: E05C1000 8085CCCB
	buffer_load_dwordx4 a[208:211], v204, s[20:23], 0 offen    // 00000000AA68: E05C1000 8085D0CC
	ds_write_b64 v13, v[112:113] offset:4096                   // 00000000AA70: D89A1000 0000700D
	ds_write_b64 v13, v[114:115] offset:6144                   // 00000000AA78: D89A1800 0000720D
	ds_write_b64 v13, v[116:117] offset:8192                   // 00000000AA80: D89A2000 0000740D
	ds_write_b64 v13, v[118:119] offset:10240                  // 00000000AA88: D89A2800 0000760D
	buffer_load_dwordx4 a[212:215], v205, s[20:23], 0 offen    // 00000000AA90: E05C1000 8085D4CD
	s_waitcnt lgkmcnt(0)                                       // 00000000AA98: BF8CC07F
	s_barrier                                                  // 00000000AA9C: BF8A0000
	ds_read_b64 v[112:113], v12 offset:4096                    // 00000000AAA0: D8EC1000 7000000C
	ds_read_b64 v[114:115], v12 offset:4224                    // 00000000AAA8: D8EC1080 7200000C
	ds_read_b64 v[116:117], v12 offset:5120                    // 00000000AAB0: D8EC1400 7400000C
	ds_read_b64 v[118:119], v12 offset:5248                    // 00000000AAB8: D8EC1480 7600000C
	ds_read_b64 v[120:121], v12 offset:6144                    // 00000000AAC0: D8EC1800 7800000C
	ds_read_b64 v[122:123], v12 offset:6272                    // 00000000AAC8: D8EC1880 7A00000C
	ds_read_b64 v[124:125], v12 offset:7168                    // 00000000AAD0: D8EC1C00 7C00000C
	ds_read_b64 v[126:127], v12 offset:7296                    // 00000000AAD8: D8EC1C80 7E00000C
	ds_read_b64 v[128:129], v12 offset:8192                    // 00000000AAE0: D8EC2000 8000000C
	ds_read_b64 v[130:131], v12 offset:8320                    // 00000000AAE8: D8EC2080 8200000C
	ds_read_b64 v[132:133], v12 offset:9216                    // 00000000AAF0: D8EC2400 8400000C
	ds_read_b64 v[134:135], v12 offset:9344                    // 00000000AAF8: D8EC2480 8600000C
	ds_read_b64 v[136:137], v12 offset:10240                   // 00000000AB00: D8EC2800 8800000C
	ds_read_b64 v[138:139], v12 offset:10368                   // 00000000AB08: D8EC2880 8A00000C
	ds_read_b64 v[140:141], v12 offset:11264                   // 00000000AB10: D8EC2C00 8C00000C
	ds_read_b64 v[142:143], v12 offset:11392                   // 00000000AB18: D8EC2C80 8E00000C
	buffer_load_dwordx4 a[216:219], v206, s[20:23], 0 offen    // 00000000AB20: E05C1000 8085D8CE
	buffer_load_dwordx4 a[220:223], v207, s[20:23], 0 offen    // 00000000AB28: E05C1000 8085DCCF
	s_waitcnt lgkmcnt(0)                                       // 00000000AB30: BF8CC07F
	s_nop 8                                                    // 00000000AB34: BF800008
	v_mov_b32_e32 v50, v144                                    // 00000000AB38: 7E640390
	v_max3_f32 v50, v144, v145, v50                            // 00000000AB3C: D1D30032 04CB2390
	v_max3_f32 v50, v146, v147, v50                            // 00000000AB44: D1D30032 04CB2792
	v_max3_f32 v50, v148, v149, v50                            // 00000000AB4C: D1D30032 04CB2B94
	v_max3_f32 v50, v150, v151, v50                            // 00000000AB54: D1D30032 04CB2F96
	v_max3_f32 v50, v152, v153, v50                            // 00000000AB5C: D1D30032 04CB3398
	v_max3_f32 v50, v154, v155, v50                            // 00000000AB64: D1D30032 04CB379A
	v_max3_f32 v50, v156, v157, v50                            // 00000000AB6C: D1D30032 04CB3B9C
	v_max3_f32 v50, v158, v159, v50                            // 00000000AB74: D1D30032 04CB3F9E
	ds_write_b32 v11, v50                                      // 00000000AB7C: D81A0000 0000320B
	s_waitcnt lgkmcnt(0)                                       // 00000000AB84: BF8CC07F
	s_barrier                                                  // 00000000AB88: BF8A0000
	ds_read_b32 v64, v10                                       // 00000000AB8C: D86C0000 4000000A
	ds_read_b32 v65, v10 offset:64                             // 00000000AB94: D86C0040 4100000A
	ds_read_b32 v66, v10 offset:128                            // 00000000AB9C: D86C0080 4200000A
	ds_read_b32 v67, v10 offset:192                            // 00000000ABA4: D86C00C0 4300000A
	ds_read_b32 v68, v10 offset:256                            // 00000000ABAC: D86C0100 4400000A
	ds_read_b32 v69, v10 offset:320                            // 00000000ABB4: D86C0140 4500000A
	ds_read_b32 v70, v10 offset:384                            // 00000000ABBC: D86C0180 4600000A
	ds_read_b32 v71, v10 offset:448                            // 00000000ABC4: D86C01C0 4700000A
	ds_read_b32 v72, v10 offset:512                            // 00000000ABCC: D86C0200 4800000A
	ds_read_b32 v73, v10 offset:576                            // 00000000ABD4: D86C0240 4900000A
	ds_read_b32 v74, v10 offset:640                            // 00000000ABDC: D86C0280 4A00000A
	ds_read_b32 v75, v10 offset:704                            // 00000000ABE4: D86C02C0 4B00000A
	ds_read_b32 v76, v10 offset:768                            // 00000000ABEC: D86C0300 4C00000A
	ds_read_b32 v77, v10 offset:832                            // 00000000ABF4: D86C0340 4D00000A
	ds_read_b32 v78, v10 offset:896                            // 00000000ABFC: D86C0380 4E00000A
	ds_read_b32 v79, v10 offset:960                            // 00000000AC04: D86C03C0 4F00000A
	s_waitcnt lgkmcnt(0)                                       // 00000000AC0C: BF8CC07F
	v_max3_f32 v50, v64, v65, v50                              // 00000000AC10: D1D30032 04CA8340
	v_max3_f32 v50, v66, v67, v50                              // 00000000AC18: D1D30032 04CA8742
	v_max3_f32 v50, v68, v69, v50                              // 00000000AC20: D1D30032 04CA8B44
	v_max3_f32 v50, v70, v71, v50                              // 00000000AC28: D1D30032 04CA8F46
	v_max3_f32 v50, v72, v73, v50                              // 00000000AC30: D1D30032 04CA9348
	v_max3_f32 v50, v74, v75, v50                              // 00000000AC38: D1D30032 04CA974A
	v_max3_f32 v50, v76, v77, v50                              // 00000000AC40: D1D30032 04CA9B4C
	v_max3_f32 v50, v78, v79, v50                              // 00000000AC48: D1D30032 04CA9F4E
	v_cmp_eq_u32_e64 s[40:41], v55, v15                        // 00000000AC50: D0CA0028 00021F37
	s_nop 1                                                    // 00000000AC58: BF800001
	v_max_f32_e32 v16, v50, v15                                // 00000000AC5C: 16201F32
	v_sub_f32_e32 v52, v15, v16                                // 00000000AC60: 0468210F
	v_cndmask_b32_e64 v52, v52, 0, s[40:41]                    // 00000000AC64: D1000034 00A10134
	v_mov_b32_e32 v15, v16                                     // 00000000AC6C: 7E1E0310
	v_mul_f32_e32 v53, s64, v16                                // 00000000AC70: 0A6A2040
	v_mul_f32_e32 v52, s64, v52                                // 00000000AC74: 0A686840
	v_exp_f32_e32 v52, v52                                     // 00000000AC78: 7E684134
	v_fma_f32 v144, v144, s64, -v53                            // 00000000AC7C: D1CB0090 84D48190
	v_fma_f32 v145, v145, s64, -v53                            // 00000000AC84: D1CB0091 84D48191
	v_fma_f32 v146, v146, s64, -v53                            // 00000000AC8C: D1CB0092 84D48192
	v_fma_f32 v147, v147, s64, -v53                            // 00000000AC94: D1CB0093 84D48193
	v_fma_f32 v148, v148, s64, -v53                            // 00000000AC9C: D1CB0094 84D48194
	v_fma_f32 v149, v149, s64, -v53                            // 00000000ACA4: D1CB0095 84D48195
	v_fma_f32 v150, v150, s64, -v53                            // 00000000ACAC: D1CB0096 84D48196
	v_fma_f32 v151, v151, s64, -v53                            // 00000000ACB4: D1CB0097 84D48197
	v_fma_f32 v152, v152, s64, -v53                            // 00000000ACBC: D1CB0098 84D48198
	v_fma_f32 v153, v153, s64, -v53                            // 00000000ACC4: D1CB0099 84D48199
	v_fma_f32 v154, v154, s64, -v53                            // 00000000ACCC: D1CB009A 84D4819A
	v_fma_f32 v155, v155, s64, -v53                            // 00000000ACD4: D1CB009B 84D4819B
	v_fma_f32 v156, v156, s64, -v53                            // 00000000ACDC: D1CB009C 84D4819C
	v_fma_f32 v157, v157, s64, -v53                            // 00000000ACE4: D1CB009D 84D4819D
	v_fma_f32 v158, v158, s64, -v53                            // 00000000ACEC: D1CB009E 84D4819E
	v_fma_f32 v159, v159, s64, -v53                            // 00000000ACF4: D1CB009F 84D4819F
	v_exp_f32_e32 v144, v144                                   // 00000000ACFC: 7F204190
	v_exp_f32_e32 v145, v145                                   // 00000000AD00: 7F224191
	v_exp_f32_e32 v146, v146                                   // 00000000AD04: 7F244192
	v_exp_f32_e32 v147, v147                                   // 00000000AD08: 7F264193
	v_exp_f32_e32 v148, v148                                   // 00000000AD0C: 7F284194
	v_exp_f32_e32 v149, v149                                   // 00000000AD10: 7F2A4195
	v_exp_f32_e32 v150, v150                                   // 00000000AD14: 7F2C4196
	v_exp_f32_e32 v151, v151                                   // 00000000AD18: 7F2E4197
	v_exp_f32_e32 v152, v152                                   // 00000000AD1C: 7F304198
	v_exp_f32_e32 v153, v153                                   // 00000000AD20: 7F324199
	v_exp_f32_e32 v154, v154                                   // 00000000AD24: 7F34419A
	v_exp_f32_e32 v155, v155                                   // 00000000AD28: 7F36419B
	v_exp_f32_e32 v156, v156                                   // 00000000AD2C: 7F38419C
	v_exp_f32_e32 v157, v157                                   // 00000000AD30: 7F3A419D
	v_exp_f32_e32 v158, v158                                   // 00000000AD34: 7F3C419E
	v_exp_f32_e32 v159, v159                                   // 00000000AD38: 7F3E419F
	v_mul_f32_e32 v44, v52, v44                                // 00000000AD3C: 0A585934
	v_mov_b32_e32 v45, v144                                    // 00000000AD40: 7E5A0390
	v_add_f32_e32 v45, v145, v45                               // 00000000AD44: 025A5B91
	v_add_f32_e32 v45, v146, v45                               // 00000000AD48: 025A5B92
	v_add_f32_e32 v45, v147, v45                               // 00000000AD4C: 025A5B93
	v_add_f32_e32 v45, v148, v45                               // 00000000AD50: 025A5B94
	v_add_f32_e32 v45, v149, v45                               // 00000000AD54: 025A5B95
	v_add_f32_e32 v45, v150, v45                               // 00000000AD58: 025A5B96
	v_add_f32_e32 v45, v151, v45                               // 00000000AD5C: 025A5B97
	v_add_f32_e32 v45, v152, v45                               // 00000000AD60: 025A5B98
	v_add_f32_e32 v45, v153, v45                               // 00000000AD64: 025A5B99
	v_add_f32_e32 v45, v154, v45                               // 00000000AD68: 025A5B9A
	v_add_f32_e32 v45, v155, v45                               // 00000000AD6C: 025A5B9B
	v_add_f32_e32 v45, v156, v45                               // 00000000AD70: 025A5B9C
	v_add_f32_e32 v45, v157, v45                               // 00000000AD74: 025A5B9D
	v_add_f32_e32 v45, v158, v45                               // 00000000AD78: 025A5B9E
	v_add_f32_e32 v45, v159, v45                               // 00000000AD7C: 025A5B9F
	v_add_f32_e32 v44, v45, v44                                // 00000000AD80: 0258592D
	v_cmp_u_f32_e64 s[40:41], v144, v144                       // 00000000AD84: D0480028 00032190
	v_add3_u32 v19, v144, v22, 1                               // 00000000AD8C: D1FF0013 02062D90
	v_cndmask_b32_e64 v39, v19, v21, s[40:41]                  // 00000000AD94: D1000027 00A22B13
	v_cmp_u_f32_e64 s[40:41], v145, v145                       // 00000000AD9C: D0480028 00032391
	v_add3_u32 v19, v145, v22, 1                               // 00000000ADA4: D1FF0013 02062D91
	v_cndmask_b32_e64 v40, v19, v21, s[40:41]                  // 00000000ADAC: D1000028 00A22B13
	v_perm_b32 v144, v40, v39, s52                             // 00000000ADB4: D1ED0090 00D24F28
	v_cmp_u_f32_e64 s[40:41], v146, v146                       // 00000000ADBC: D0480028 00032592
	v_add3_u32 v19, v146, v22, 1                               // 00000000ADC4: D1FF0013 02062D92
	v_cndmask_b32_e64 v39, v19, v21, s[40:41]                  // 00000000ADCC: D1000027 00A22B13
	v_cmp_u_f32_e64 s[40:41], v147, v147                       // 00000000ADD4: D0480028 00032793
	v_add3_u32 v19, v147, v22, 1                               // 00000000ADDC: D1FF0013 02062D93
	v_cndmask_b32_e64 v40, v19, v21, s[40:41]                  // 00000000ADE4: D1000028 00A22B13
	v_perm_b32 v145, v40, v39, s52                             // 00000000ADEC: D1ED0091 00D24F28
	v_cmp_u_f32_e64 s[40:41], v148, v148                       // 00000000ADF4: D0480028 00032994
	v_add3_u32 v19, v148, v22, 1                               // 00000000ADFC: D1FF0013 02062D94
	v_cndmask_b32_e64 v39, v19, v21, s[40:41]                  // 00000000AE04: D1000027 00A22B13
	v_cmp_u_f32_e64 s[40:41], v149, v149                       // 00000000AE0C: D0480028 00032B95
	v_add3_u32 v19, v149, v22, 1                               // 00000000AE14: D1FF0013 02062D95
	v_cndmask_b32_e64 v40, v19, v21, s[40:41]                  // 00000000AE1C: D1000028 00A22B13
	v_perm_b32 v146, v40, v39, s52                             // 00000000AE24: D1ED0092 00D24F28
	v_cmp_u_f32_e64 s[40:41], v150, v150                       // 00000000AE2C: D0480028 00032D96
	v_add3_u32 v19, v150, v22, 1                               // 00000000AE34: D1FF0013 02062D96
	v_cndmask_b32_e64 v39, v19, v21, s[40:41]                  // 00000000AE3C: D1000027 00A22B13
	v_cmp_u_f32_e64 s[40:41], v151, v151                       // 00000000AE44: D0480028 00032F97
	v_add3_u32 v19, v151, v22, 1                               // 00000000AE4C: D1FF0013 02062D97
	v_cndmask_b32_e64 v40, v19, v21, s[40:41]                  // 00000000AE54: D1000028 00A22B13
	v_perm_b32 v147, v40, v39, s52                             // 00000000AE5C: D1ED0093 00D24F28
	v_cmp_u_f32_e64 s[40:41], v152, v152                       // 00000000AE64: D0480028 00033198
	v_add3_u32 v19, v152, v22, 1                               // 00000000AE6C: D1FF0013 02062D98
	v_cndmask_b32_e64 v39, v19, v21, s[40:41]                  // 00000000AE74: D1000027 00A22B13
	v_cmp_u_f32_e64 s[40:41], v153, v153                       // 00000000AE7C: D0480028 00033399
	v_add3_u32 v19, v153, v22, 1                               // 00000000AE84: D1FF0013 02062D99
	v_cndmask_b32_e64 v40, v19, v21, s[40:41]                  // 00000000AE8C: D1000028 00A22B13
	v_perm_b32 v148, v40, v39, s52                             // 00000000AE94: D1ED0094 00D24F28
	v_cmp_u_f32_e64 s[40:41], v154, v154                       // 00000000AE9C: D0480028 0003359A
	v_add3_u32 v19, v154, v22, 1                               // 00000000AEA4: D1FF0013 02062D9A
	v_cndmask_b32_e64 v39, v19, v21, s[40:41]                  // 00000000AEAC: D1000027 00A22B13
	v_cmp_u_f32_e64 s[40:41], v155, v155                       // 00000000AEB4: D0480028 0003379B
	v_add3_u32 v19, v155, v22, 1                               // 00000000AEBC: D1FF0013 02062D9B
	v_cndmask_b32_e64 v40, v19, v21, s[40:41]                  // 00000000AEC4: D1000028 00A22B13
	v_perm_b32 v149, v40, v39, s52                             // 00000000AECC: D1ED0095 00D24F28
	v_cmp_u_f32_e64 s[40:41], v156, v156                       // 00000000AED4: D0480028 0003399C
	v_add3_u32 v19, v156, v22, 1                               // 00000000AEDC: D1FF0013 02062D9C
	v_cndmask_b32_e64 v39, v19, v21, s[40:41]                  // 00000000AEE4: D1000027 00A22B13
	v_cmp_u_f32_e64 s[40:41], v157, v157                       // 00000000AEEC: D0480028 00033B9D
	v_add3_u32 v19, v157, v22, 1                               // 00000000AEF4: D1FF0013 02062D9D
	v_cndmask_b32_e64 v40, v19, v21, s[40:41]                  // 00000000AEFC: D1000028 00A22B13
	v_perm_b32 v150, v40, v39, s52                             // 00000000AF04: D1ED0096 00D24F28
	v_cmp_u_f32_e64 s[40:41], v158, v158                       // 00000000AF0C: D0480028 00033D9E
	v_add3_u32 v19, v158, v22, 1                               // 00000000AF14: D1FF0013 02062D9E
	v_cndmask_b32_e64 v39, v19, v21, s[40:41]                  // 00000000AF1C: D1000027 00A22B13
	v_cmp_u_f32_e64 s[40:41], v159, v159                       // 00000000AF24: D0480028 00033F9F
	v_add3_u32 v19, v159, v22, 1                               // 00000000AF2C: D1FF0013 02062D9F
	v_cndmask_b32_e64 v40, v19, v21, s[40:41]                  // 00000000AF34: D1000028 00A22B13
	v_perm_b32 v151, v40, v39, s52                             // 00000000AF3C: D1ED0097 00D24F28
	ds_write_b64 v13, v[144:145] offset:4096                   // 00000000AF44: D89A1000 0000900D
	ds_write_b64 v13, v[146:147] offset:6144                   // 00000000AF4C: D89A1800 0000920D
	ds_write_b64 v13, v[148:149] offset:8192                   // 00000000AF54: D89A2000 0000940D
	ds_write_b64 v13, v[150:151] offset:10240                  // 00000000AF5C: D89A2800 0000960D
	s_waitcnt lgkmcnt(0)                                       // 00000000AF64: BF8CC07F
	s_barrier                                                  // 00000000AF68: BF8A0000
	ds_read_b64 v[144:145], v12 offset:4096                    // 00000000AF6C: D8EC1000 9000000C
	ds_read_b64 v[146:147], v12 offset:4224                    // 00000000AF74: D8EC1080 9200000C
	ds_read_b64 v[148:149], v12 offset:5120                    // 00000000AF7C: D8EC1400 9400000C
	ds_read_b64 v[150:151], v12 offset:5248                    // 00000000AF84: D8EC1480 9600000C
	ds_read_b64 v[152:153], v12 offset:6144                    // 00000000AF8C: D8EC1800 9800000C
	ds_read_b64 v[154:155], v12 offset:6272                    // 00000000AF94: D8EC1880 9A00000C
	ds_read_b64 v[156:157], v12 offset:7168                    // 00000000AF9C: D8EC1C00 9C00000C
	ds_read_b64 v[158:159], v12 offset:7296                    // 00000000AFA4: D8EC1C80 9E00000C
	ds_read_b64 v[160:161], v12 offset:8192                    // 00000000AFAC: D8EC2000 A000000C
	ds_read_b64 v[162:163], v12 offset:8320                    // 00000000AFB4: D8EC2080 A200000C
	ds_read_b64 v[164:165], v12 offset:9216                    // 00000000AFBC: D8EC2400 A400000C
	ds_read_b64 v[166:167], v12 offset:9344                    // 00000000AFC4: D8EC2480 A600000C
	ds_read_b64 v[168:169], v12 offset:10240                   // 00000000AFCC: D8EC2800 A800000C
	ds_read_b64 v[170:171], v12 offset:10368                   // 00000000AFD4: D8EC2880 AA00000C
	ds_read_b64 v[172:173], v12 offset:11264                   // 00000000AFDC: D8EC2C00 AC00000C
	ds_read_b64 v[174:175], v12 offset:11392                   // 00000000AFE4: D8EC2C80 AE00000C
	s_waitcnt lgkmcnt(0)                                       // 00000000AFEC: BF8CC07F
	v_mul_f32_e32 v176, v51, v176                              // 00000000AFF0: 0B616133
	v_mul_f32_e32 v177, v51, v177                              // 00000000AFF4: 0B636333
	v_mul_f32_e32 v178, v51, v178                              // 00000000AFF8: 0B656533
	v_mul_f32_e32 v179, v51, v179                              // 00000000AFFC: 0B676733
	v_mul_f32_e32 v180, v51, v180                              // 00000000B000: 0B696933
	v_mul_f32_e32 v181, v51, v181                              // 00000000B004: 0B6B6B33
	v_mul_f32_e32 v182, v51, v182                              // 00000000B008: 0B6D6D33
	v_mul_f32_e32 v183, v51, v183                              // 00000000B00C: 0B6F6F33
	v_mul_f32_e32 v184, v52, v184                              // 00000000B010: 0B717134
	v_mul_f32_e32 v185, v52, v185                              // 00000000B014: 0B737334
	v_mul_f32_e32 v186, v52, v186                              // 00000000B018: 0B757534
	v_mul_f32_e32 v187, v52, v187                              // 00000000B01C: 0B777734
	v_mul_f32_e32 v188, v52, v188                              // 00000000B020: 0B797934
	v_mul_f32_e32 v189, v52, v189                              // 00000000B024: 0B7B7B34
	v_mul_f32_e32 v190, v52, v190                              // 00000000B028: 0B7D7D34
	v_mul_f32_e32 v191, v52, v191                              // 00000000B02C: 0B7F7F34
	s_waitcnt vmcnt(24)                                        // 00000000B030: BF8C4F78
	v_mfma_f32_16x16x16_bf16 v[176:179], a[128:129], v[112:113], v[176:179]// 00000000B034: D3E100B0 0EC2E180
	v_mfma_f32_16x16x16_bf16 v[176:179], a[130:131], v[114:115], v[176:179]// 00000000B03C: D3E100B0 0EC2E582
	buffer_load_dwordx4 a[224:227], v200, s[20:23], 0 offen offset:1024// 00000000B044: E05C1400 8085E0C8
	v_mfma_f32_16x16x16_bf16 v[176:179], a[132:133], v[116:117], v[176:179]// 00000000B04C: D3E100B0 0EC2E984
	v_mfma_f32_16x16x16_bf16 v[176:179], a[134:135], v[118:119], v[176:179]// 00000000B054: D3E100B0 0EC2ED86
	v_mfma_f32_16x16x16_bf16 v[176:179], a[136:137], v[120:121], v[176:179]// 00000000B05C: D3E100B0 0EC2F188
	v_mfma_f32_16x16x16_bf16 v[176:179], a[138:139], v[122:123], v[176:179]// 00000000B064: D3E100B0 0EC2F58A
	buffer_load_dwordx4 a[228:231], v201, s[20:23], 0 offen offset:1024// 00000000B06C: E05C1400 8085E4C9
	v_mfma_f32_16x16x16_bf16 v[176:179], a[140:141], v[124:125], v[176:179]// 00000000B074: D3E100B0 0EC2F98C
	v_mfma_f32_16x16x16_bf16 v[176:179], a[142:143], v[126:127], v[176:179]// 00000000B07C: D3E100B0 0EC2FD8E
	v_mfma_f32_16x16x16_bf16 v[176:179], a[144:145], v[128:129], v[176:179]// 00000000B084: D3E100B0 0EC30190
	v_mfma_f32_16x16x16_bf16 v[176:179], a[146:147], v[130:131], v[176:179]// 00000000B08C: D3E100B0 0EC30592
	buffer_load_dwordx4 a[232:235], v202, s[20:23], 0 offen offset:1024// 00000000B094: E05C1400 8085E8CA
	v_mfma_f32_16x16x16_bf16 v[176:179], a[148:149], v[132:133], v[176:179]// 00000000B09C: D3E100B0 0EC30994
	v_mfma_f32_16x16x16_bf16 v[176:179], a[150:151], v[134:135], v[176:179]// 00000000B0A4: D3E100B0 0EC30D96
	v_mfma_f32_16x16x16_bf16 v[176:179], a[152:153], v[136:137], v[176:179]// 00000000B0AC: D3E100B0 0EC31198
	v_mfma_f32_16x16x16_bf16 v[176:179], a[154:155], v[138:139], v[176:179]// 00000000B0B4: D3E100B0 0EC3159A
	buffer_load_dwordx4 a[236:239], v203, s[20:23], 0 offen offset:1024// 00000000B0BC: E05C1400 8085ECCB
	v_mfma_f32_16x16x16_bf16 v[176:179], a[156:157], v[140:141], v[176:179]// 00000000B0C4: D3E100B0 0EC3199C
	v_mfma_f32_16x16x16_bf16 v[176:179], a[158:159], v[142:143], v[176:179]// 00000000B0CC: D3E100B0 0EC31D9E
	v_mfma_f32_16x16x16_bf16 v[180:183], a[160:161], v[112:113], v[180:183]// 00000000B0D4: D3E100B4 0ED2E1A0
	v_mfma_f32_16x16x16_bf16 v[180:183], a[162:163], v[114:115], v[180:183]// 00000000B0DC: D3E100B4 0ED2E5A2
	buffer_load_dwordx4 a[240:243], v204, s[20:23], 0 offen offset:1024// 00000000B0E4: E05C1400 8085F0CC
	v_mfma_f32_16x16x16_bf16 v[180:183], a[164:165], v[116:117], v[180:183]// 00000000B0EC: D3E100B4 0ED2E9A4
	v_mfma_f32_16x16x16_bf16 v[180:183], a[166:167], v[118:119], v[180:183]// 00000000B0F4: D3E100B4 0ED2EDA6
	v_mfma_f32_16x16x16_bf16 v[180:183], a[168:169], v[120:121], v[180:183]// 00000000B0FC: D3E100B4 0ED2F1A8
	v_mfma_f32_16x16x16_bf16 v[180:183], a[170:171], v[122:123], v[180:183]// 00000000B104: D3E100B4 0ED2F5AA
	buffer_load_dwordx4 a[244:247], v205, s[20:23], 0 offen offset:1024// 00000000B10C: E05C1400 8085F4CD
	v_mfma_f32_16x16x16_bf16 v[180:183], a[172:173], v[124:125], v[180:183]// 00000000B114: D3E100B4 0ED2F9AC
	v_mfma_f32_16x16x16_bf16 v[180:183], a[174:175], v[126:127], v[180:183]// 00000000B11C: D3E100B4 0ED2FDAE
	v_mfma_f32_16x16x16_bf16 v[180:183], a[176:177], v[128:129], v[180:183]// 00000000B124: D3E100B4 0ED301B0
	v_mfma_f32_16x16x16_bf16 v[180:183], a[178:179], v[130:131], v[180:183]// 00000000B12C: D3E100B4 0ED305B2
	buffer_load_dwordx4 a[248:251], v206, s[20:23], 0 offen offset:1024// 00000000B134: E05C1400 8085F8CE
	v_mfma_f32_16x16x16_bf16 v[180:183], a[180:181], v[132:133], v[180:183]// 00000000B13C: D3E100B4 0ED309B4
	v_mfma_f32_16x16x16_bf16 v[180:183], a[182:183], v[134:135], v[180:183]// 00000000B144: D3E100B4 0ED30DB6
	v_mfma_f32_16x16x16_bf16 v[180:183], a[184:185], v[136:137], v[180:183]// 00000000B14C: D3E100B4 0ED311B8
	v_mfma_f32_16x16x16_bf16 v[180:183], a[186:187], v[138:139], v[180:183]// 00000000B154: D3E100B4 0ED315BA
	buffer_load_dwordx4 a[252:255], v207, s[20:23], 0 offen offset:1024// 00000000B15C: E05C1400 8085FCCF
	v_mfma_f32_16x16x16_bf16 v[180:183], a[188:189], v[140:141], v[180:183]// 00000000B164: D3E100B4 0ED319BC
	v_mfma_f32_16x16x16_bf16 v[180:183], a[190:191], v[142:143], v[180:183]// 00000000B16C: D3E100B4 0ED31DBE
	v_mfma_f32_16x16x16_bf16 v[184:187], a[128:129], v[144:145], v[184:187]// 00000000B174: D3E100B8 0EE32180
	v_mfma_f32_16x16x16_bf16 v[184:187], a[130:131], v[146:147], v[184:187]// 00000000B17C: D3E100B8 0EE32582
	v_mfma_f32_16x16x16_bf16 v[184:187], a[132:133], v[148:149], v[184:187]// 00000000B184: D3E100B8 0EE32984
	v_mfma_f32_16x16x16_bf16 v[184:187], a[134:135], v[150:151], v[184:187]// 00000000B18C: D3E100B8 0EE32D86
	v_mfma_f32_16x16x16_bf16 v[184:187], a[136:137], v[152:153], v[184:187]// 00000000B194: D3E100B8 0EE33188
	v_mfma_f32_16x16x16_bf16 v[184:187], a[138:139], v[154:155], v[184:187]// 00000000B19C: D3E100B8 0EE3358A
	v_mfma_f32_16x16x16_bf16 v[184:187], a[140:141], v[156:157], v[184:187]// 00000000B1A4: D3E100B8 0EE3398C
	v_mfma_f32_16x16x16_bf16 v[184:187], a[142:143], v[158:159], v[184:187]// 00000000B1AC: D3E100B8 0EE33D8E
	v_mfma_f32_16x16x16_bf16 v[184:187], a[144:145], v[160:161], v[184:187]// 00000000B1B4: D3E100B8 0EE34190
	v_mfma_f32_16x16x16_bf16 v[184:187], a[146:147], v[162:163], v[184:187]// 00000000B1BC: D3E100B8 0EE34592
	v_mfma_f32_16x16x16_bf16 v[184:187], a[148:149], v[164:165], v[184:187]// 00000000B1C4: D3E100B8 0EE34994
	v_mfma_f32_16x16x16_bf16 v[184:187], a[150:151], v[166:167], v[184:187]// 00000000B1CC: D3E100B8 0EE34D96
	v_mfma_f32_16x16x16_bf16 v[184:187], a[152:153], v[168:169], v[184:187]// 00000000B1D4: D3E100B8 0EE35198
	v_mfma_f32_16x16x16_bf16 v[184:187], a[154:155], v[170:171], v[184:187]// 00000000B1DC: D3E100B8 0EE3559A
	v_mfma_f32_16x16x16_bf16 v[184:187], a[156:157], v[172:173], v[184:187]// 00000000B1E4: D3E100B8 0EE3599C
	v_mfma_f32_16x16x16_bf16 v[184:187], a[158:159], v[174:175], v[184:187]// 00000000B1EC: D3E100B8 0EE35D9E
	v_mfma_f32_16x16x16_bf16 v[188:191], a[160:161], v[144:145], v[188:191]// 00000000B1F4: D3E100BC 0EF321A0
	v_mfma_f32_16x16x16_bf16 v[188:191], a[162:163], v[146:147], v[188:191]// 00000000B1FC: D3E100BC 0EF325A2
	v_mfma_f32_16x16x16_bf16 v[188:191], a[164:165], v[148:149], v[188:191]// 00000000B204: D3E100BC 0EF329A4
	v_mfma_f32_16x16x16_bf16 v[188:191], a[166:167], v[150:151], v[188:191]// 00000000B20C: D3E100BC 0EF32DA6
	v_mfma_f32_16x16x16_bf16 v[188:191], a[168:169], v[152:153], v[188:191]// 00000000B214: D3E100BC 0EF331A8
	v_mfma_f32_16x16x16_bf16 v[188:191], a[170:171], v[154:155], v[188:191]// 00000000B21C: D3E100BC 0EF335AA
	v_mfma_f32_16x16x16_bf16 v[188:191], a[172:173], v[156:157], v[188:191]// 00000000B224: D3E100BC 0EF339AC
	v_mfma_f32_16x16x16_bf16 v[188:191], a[174:175], v[158:159], v[188:191]// 00000000B22C: D3E100BC 0EF33DAE
	v_mfma_f32_16x16x16_bf16 v[188:191], a[176:177], v[160:161], v[188:191]// 00000000B234: D3E100BC 0EF341B0
	v_mfma_f32_16x16x16_bf16 v[188:191], a[178:179], v[162:163], v[188:191]// 00000000B23C: D3E100BC 0EF345B2
	v_mfma_f32_16x16x16_bf16 v[188:191], a[180:181], v[164:165], v[188:191]// 00000000B244: D3E100BC 0EF349B4
	v_mfma_f32_16x16x16_bf16 v[188:191], a[182:183], v[166:167], v[188:191]// 00000000B24C: D3E100BC 0EF34DB6
	v_mfma_f32_16x16x16_bf16 v[188:191], a[184:185], v[168:169], v[188:191]// 00000000B254: D3E100BC 0EF351B8
	v_mfma_f32_16x16x16_bf16 v[188:191], a[186:187], v[170:171], v[188:191]// 00000000B25C: D3E100BC 0EF355BA
	v_mfma_f32_16x16x16_bf16 v[188:191], a[188:189], v[172:173], v[188:191]// 00000000B264: D3E100BC 0EF359BC
	v_mfma_f32_16x16x16_bf16 v[188:191], a[190:191], v[174:175], v[188:191]// 00000000B26C: D3E100BC 0EF35DBE
	s_lshr_b32 s60, s70, 4                                     // 00000000B274: 8F3C8446
	s_add_u32 s60, 48, s60                                     // 00000000B278: 803C3CB0
	s_cmp_ge_u32 s60, s73                                      // 00000000B27C: BF09493C
	s_cselect_b32 s56, 0, s56                                  // 00000000B280: 85383880
	v_mul_u32_u24_dpp v39, v17, v54 row_newbcast:0 row_mask:0xf bank_mask:0xf// 00000000B284: 104E6CFA FF015011
	v_mul_u32_u24_dpp v40, v17, v54 row_newbcast:4 row_mask:0xf bank_mask:0xf// 00000000B28C: 10506CFA FF015411
	v_mul_u32_u24_dpp v41, v17, v54 row_newbcast:8 row_mask:0xf bank_mask:0xf// 00000000B294: 10526CFA FF015811
	v_mul_u32_u24_dpp v42, v17, v54 row_newbcast:12 row_mask:0xf bank_mask:0xf// 00000000B29C: 10546CFA FF015C11
	v_add_u32_e32 v23, v39, v6                                 // 00000000B2A4: 682E0D27
	v_add_u32_e32 v24, v40, v6                                 // 00000000B2A8: 68300D28
	v_add_u32_e32 v25, v41, v6                                 // 00000000B2AC: 68320D29
	v_add_u32_e32 v26, v42, v6                                 // 00000000B2B0: 68340D2A
	v_mul_u32_u24_dpp v39, v17, v54 row_newbcast:1 row_mask:0xf bank_mask:0xf// 00000000B2B4: 104E6CFA FF015111
	v_mul_u32_u24_dpp v40, v17, v54 row_newbcast:2 row_mask:0xf bank_mask:0xf// 00000000B2BC: 10506CFA FF015211
	v_mul_u32_u24_dpp v41, v17, v54 row_newbcast:5 row_mask:0xf bank_mask:0xf// 00000000B2C4: 10526CFA FF015511
	v_mul_u32_u24_dpp v42, v17, v54 row_newbcast:6 row_mask:0xf bank_mask:0xf// 00000000B2CC: 10546CFA FF015611
	v_add_u32_e32 v192, v39, v7                                // 00000000B2D4: 69800F27
	v_add_u32_e32 v193, v40, v7                                // 00000000B2D8: 69820F28
	v_add_u32_e32 v194, v41, v7                                // 00000000B2DC: 69840F29
	v_add_u32_e32 v195, v42, v7                                // 00000000B2E0: 69860F2A
	v_mul_u32_u24_dpp v39, v17, v54 row_newbcast:9 row_mask:0xf bank_mask:0xf// 00000000B2E4: 104E6CFA FF015911
	v_mul_u32_u24_dpp v40, v17, v54 row_newbcast:10 row_mask:0xf bank_mask:0xf// 00000000B2EC: 10506CFA FF015A11
	v_mul_u32_u24_dpp v41, v17, v54 row_newbcast:13 row_mask:0xf bank_mask:0xf// 00000000B2F4: 10526CFA FF015D11
	v_mul_u32_u24_dpp v42, v17, v54 row_newbcast:7 row_mask:0xf bank_mask:0xf// 00000000B2FC: 10546CFA FF015711
	v_add_u32_e32 v196, v39, v7                                // 00000000B304: 69880F27
	v_add_u32_e32 v197, v40, v7                                // 00000000B308: 698A0F28
	v_add_u32_e32 v198, v41, v7                                // 00000000B30C: 698C0F29
	v_add_u32_e32 v199, v42, v7                                // 00000000B310: 698E0F2A
	v_add_u32_e32 v1, s56, v1                                  // 00000000B314: 68020238
	s_addk_i32 s70, 0x100                                      // 00000000B318: B7460100
	s_cmp_lt_i32 s70, s71                                      // 00000000B31C: BF044746
	s_cbranch_scc0 label_282A                                  // 00000000B320: BF8403E0
	s_waitcnt vmcnt(16) lgkmcnt(0)                             // 00000000B324: BF8C4070
	v_mfma_f32_16x16x16_bf16 v[112:115], a[64:65], v[80:81], 0 // 00000000B328: D3E10070 0A02A140
	v_mfma_f32_16x16x16_bf16 v[112:115], a[66:67], v[82:83], v[112:115]// 00000000B330: D3E10070 0DC2A542
	buffer_load_dwordx4 a[0:3], v23, s[16:19], 0 offen         // 00000000B338: E05C1000 80840017
	v_mfma_f32_16x16x16_bf16 v[112:115], a[68:69], v[84:85], v[112:115]// 00000000B340: D3E10070 0DC2A944
	v_mfma_f32_16x16x16_bf16 v[112:115], a[70:71], v[86:87], v[112:115]// 00000000B348: D3E10070 0DC2AD46
	buffer_load_dword v18, v1, s[24:27], 0 offen               // 00000000B350: E0501000 80061201
	v_mfma_f32_16x16x16_bf16 v[112:115], a[72:73], v[88:89], v[112:115]// 00000000B358: D3E10070 0DC2B148
	v_mfma_f32_16x16x16_bf16 v[112:115], a[74:75], v[90:91], v[112:115]// 00000000B360: D3E10070 0DC2B54A
	buffer_load_dwordx4 a[4:7], v23, s[16:19], 0 offen offset:1024// 00000000B368: E05C1400 80840417
	v_mfma_f32_16x16x16_bf16 v[112:115], a[76:77], v[92:93], v[112:115]// 00000000B370: D3E10070 0DC2B94C
	v_mfma_f32_16x16x16_bf16 v[112:115], a[78:79], v[94:95], v[112:115]// 00000000B378: D3E10070 0DC2BD4E
	v_mfma_f32_16x16x16_bf16 v[116:119], a[80:81], v[80:81], 0 // 00000000B380: D3E10074 0A02A150
	v_mfma_f32_16x16x16_bf16 v[116:119], a[82:83], v[82:83], v[116:119]// 00000000B388: D3E10074 0DD2A552
	buffer_load_dwordx4 a[8:11], v23, s[16:19], 0 offen offset:2048// 00000000B390: E05C1800 80840817
	v_mfma_f32_16x16x16_bf16 v[116:119], a[84:85], v[84:85], v[116:119]// 00000000B398: D3E10074 0DD2A954
	v_mfma_f32_16x16x16_bf16 v[116:119], a[86:87], v[86:87], v[116:119]// 00000000B3A0: D3E10074 0DD2AD56
	v_mfma_f32_16x16x16_bf16 v[116:119], a[88:89], v[88:89], v[116:119]// 00000000B3A8: D3E10074 0DD2B158
	v_mfma_f32_16x16x16_bf16 v[116:119], a[90:91], v[90:91], v[116:119]// 00000000B3B0: D3E10074 0DD2B55A
	buffer_load_dwordx4 a[12:15], v23, s[16:19], 0 offen offset:3072// 00000000B3B8: E05C1C00 80840C17
	v_mfma_f32_16x16x16_bf16 v[116:119], a[92:93], v[92:93], v[116:119]// 00000000B3C0: D3E10074 0DD2B95C
	v_mfma_f32_16x16x16_bf16 v[116:119], a[94:95], v[94:95], v[116:119]// 00000000B3C8: D3E10074 0DD2BD5E
	v_mfma_f32_16x16x16_bf16 v[120:123], a[96:97], v[80:81], 0 // 00000000B3D0: D3E10078 0A02A160
	v_mfma_f32_16x16x16_bf16 v[120:123], a[98:99], v[82:83], v[120:123]// 00000000B3D8: D3E10078 0DE2A562
	buffer_load_dwordx4 a[16:19], v24, s[16:19], 0 offen       // 00000000B3E0: E05C1000 80841018
	v_mfma_f32_16x16x16_bf16 v[120:123], a[100:101], v[84:85], v[120:123]// 00000000B3E8: D3E10078 0DE2A964
	v_mfma_f32_16x16x16_bf16 v[120:123], a[102:103], v[86:87], v[120:123]// 00000000B3F0: D3E10078 0DE2AD66
	v_mfma_f32_16x16x16_bf16 v[120:123], a[104:105], v[88:89], v[120:123]// 00000000B3F8: D3E10078 0DE2B168
	v_mfma_f32_16x16x16_bf16 v[120:123], a[106:107], v[90:91], v[120:123]// 00000000B400: D3E10078 0DE2B56A
	buffer_load_dwordx4 a[20:23], v24, s[16:19], 0 offen offset:1024// 00000000B408: E05C1400 80841418
	v_mfma_f32_16x16x16_bf16 v[120:123], a[108:109], v[92:93], v[120:123]// 00000000B410: D3E10078 0DE2B96C
	v_mfma_f32_16x16x16_bf16 v[120:123], a[110:111], v[94:95], v[120:123]// 00000000B418: D3E10078 0DE2BD6E
	v_mfma_f32_16x16x16_bf16 v[124:127], a[112:113], v[80:81], 0// 00000000B420: D3E1007C 0A02A170
	v_mfma_f32_16x16x16_bf16 v[124:127], a[114:115], v[82:83], v[124:127]// 00000000B428: D3E1007C 0DF2A572
	buffer_load_dwordx4 a[24:27], v24, s[16:19], 0 offen offset:2048// 00000000B430: E05C1800 80841818
	v_mfma_f32_16x16x16_bf16 v[124:127], a[116:117], v[84:85], v[124:127]// 00000000B438: D3E1007C 0DF2A974
	v_mfma_f32_16x16x16_bf16 v[124:127], a[118:119], v[86:87], v[124:127]// 00000000B440: D3E1007C 0DF2AD76
	v_mfma_f32_16x16x16_bf16 v[124:127], a[120:121], v[88:89], v[124:127]// 00000000B448: D3E1007C 0DF2B178
	v_mfma_f32_16x16x16_bf16 v[124:127], a[122:123], v[90:91], v[124:127]// 00000000B450: D3E1007C 0DF2B57A
	buffer_load_dwordx4 a[28:31], v24, s[16:19], 0 offen offset:3072// 00000000B458: E05C1C00 80841C18
	v_mfma_f32_16x16x16_bf16 v[124:127], a[124:125], v[92:93], v[124:127]// 00000000B460: D3E1007C 0DF2B97C
	v_mfma_f32_16x16x16_bf16 v[124:127], a[126:127], v[94:95], v[124:127]// 00000000B468: D3E1007C 0DF2BD7E
	s_waitcnt vmcnt(16) lgkmcnt(0)                             // 00000000B470: BF8C4070
	v_mfma_f32_16x16x16_bf16 v[144:147], a[64:65], v[96:97], 0 // 00000000B474: D3E10090 0A02C140
	v_mfma_f32_16x16x16_bf16 v[144:147], a[66:67], v[98:99], v[144:147]// 00000000B47C: D3E10090 0E42C542
	v_mfma_f32_16x16x16_bf16 v[144:147], a[68:69], v[100:101], v[144:147]// 00000000B484: D3E10090 0E42C944
	v_mfma_f32_16x16x16_bf16 v[144:147], a[70:71], v[102:103], v[144:147]// 00000000B48C: D3E10090 0E42CD46
	v_mfma_f32_16x16x16_bf16 v[144:147], a[72:73], v[104:105], v[144:147]// 00000000B494: D3E10090 0E42D148
	v_mfma_f32_16x16x16_bf16 v[144:147], a[74:75], v[106:107], v[144:147]// 00000000B49C: D3E10090 0E42D54A
	v_mfma_f32_16x16x16_bf16 v[144:147], a[76:77], v[108:109], v[144:147]// 00000000B4A4: D3E10090 0E42D94C
	v_mfma_f32_16x16x16_bf16 v[144:147], a[78:79], v[110:111], v[144:147]// 00000000B4AC: D3E10090 0E42DD4E
	v_mfma_f32_16x16x16_bf16 v[148:151], a[80:81], v[96:97], 0 // 00000000B4B4: D3E10094 0A02C150
	v_mfma_f32_16x16x16_bf16 v[148:151], a[82:83], v[98:99], v[148:151]// 00000000B4BC: D3E10094 0E52C552
	v_mfma_f32_16x16x16_bf16 v[148:151], a[84:85], v[100:101], v[148:151]// 00000000B4C4: D3E10094 0E52C954
	v_mfma_f32_16x16x16_bf16 v[148:151], a[86:87], v[102:103], v[148:151]// 00000000B4CC: D3E10094 0E52CD56
	v_mfma_f32_16x16x16_bf16 v[148:151], a[88:89], v[104:105], v[148:151]// 00000000B4D4: D3E10094 0E52D158
	v_mfma_f32_16x16x16_bf16 v[148:151], a[90:91], v[106:107], v[148:151]// 00000000B4DC: D3E10094 0E52D55A
	v_mfma_f32_16x16x16_bf16 v[148:151], a[92:93], v[108:109], v[148:151]// 00000000B4E4: D3E10094 0E52D95C
	v_mfma_f32_16x16x16_bf16 v[148:151], a[94:95], v[110:111], v[148:151]// 00000000B4EC: D3E10094 0E52DD5E
	v_mfma_f32_16x16x16_bf16 v[152:155], a[96:97], v[96:97], 0 // 00000000B4F4: D3E10098 0A02C160
	v_mfma_f32_16x16x16_bf16 v[152:155], a[98:99], v[98:99], v[152:155]// 00000000B4FC: D3E10098 0E62C562
	v_mfma_f32_16x16x16_bf16 v[152:155], a[100:101], v[100:101], v[152:155]// 00000000B504: D3E10098 0E62C964
	v_mfma_f32_16x16x16_bf16 v[152:155], a[102:103], v[102:103], v[152:155]// 00000000B50C: D3E10098 0E62CD66
	v_mfma_f32_16x16x16_bf16 v[152:155], a[104:105], v[104:105], v[152:155]// 00000000B514: D3E10098 0E62D168
	v_mfma_f32_16x16x16_bf16 v[152:155], a[106:107], v[106:107], v[152:155]// 00000000B51C: D3E10098 0E62D56A
	v_mfma_f32_16x16x16_bf16 v[152:155], a[108:109], v[108:109], v[152:155]// 00000000B524: D3E10098 0E62D96C
	v_mfma_f32_16x16x16_bf16 v[152:155], a[110:111], v[110:111], v[152:155]// 00000000B52C: D3E10098 0E62DD6E
	v_mfma_f32_16x16x16_bf16 v[156:159], a[112:113], v[96:97], 0// 00000000B534: D3E1009C 0A02C170
	v_mfma_f32_16x16x16_bf16 v[156:159], a[114:115], v[98:99], v[156:159]// 00000000B53C: D3E1009C 0E72C572
	v_mfma_f32_16x16x16_bf16 v[156:159], a[116:117], v[100:101], v[156:159]// 00000000B544: D3E1009C 0E72C974
	v_mfma_f32_16x16x16_bf16 v[156:159], a[118:119], v[102:103], v[156:159]// 00000000B54C: D3E1009C 0E72CD76
	v_mfma_f32_16x16x16_bf16 v[156:159], a[120:121], v[104:105], v[156:159]// 00000000B554: D3E1009C 0E72D178
	v_mfma_f32_16x16x16_bf16 v[156:159], a[122:123], v[106:107], v[156:159]// 00000000B55C: D3E1009C 0E72D57A
	v_mfma_f32_16x16x16_bf16 v[156:159], a[124:125], v[108:109], v[156:159]// 00000000B564: D3E1009C 0E72D97C
	v_mfma_f32_16x16x16_bf16 v[156:159], a[126:127], v[110:111], v[156:159]// 00000000B56C: D3E1009C 0E72DD7E
	buffer_load_dwordx4 a[32:35], v25, s[16:19], 0 offen       // 00000000B574: E05C1000 80842019
	s_nop 8                                                    // 00000000B57C: BF800008
	buffer_load_dwordx4 a[36:39], v25, s[16:19], 0 offen offset:1024// 00000000B580: E05C1400 80842419
	v_mov_b32_e32 v50, v112                                    // 00000000B588: 7E640370
	v_max3_f32 v50, v112, v113, v50                            // 00000000B58C: D1D30032 04CAE370
	v_max3_f32 v50, v114, v115, v50                            // 00000000B594: D1D30032 04CAE772
	v_max3_f32 v50, v116, v117, v50                            // 00000000B59C: D1D30032 04CAEB74
	v_max3_f32 v50, v118, v119, v50                            // 00000000B5A4: D1D30032 04CAEF76
	v_max3_f32 v50, v120, v121, v50                            // 00000000B5AC: D1D30032 04CAF378
	v_max3_f32 v50, v122, v123, v50                            // 00000000B5B4: D1D30032 04CAF77A
	v_max3_f32 v50, v124, v125, v50                            // 00000000B5BC: D1D30032 04CAFB7C
	v_max3_f32 v50, v126, v127, v50                            // 00000000B5C4: D1D30032 04CAFF7E
	ds_write_b32 v11, v50                                      // 00000000B5CC: D81A0000 0000320B
	buffer_load_dwordx4 a[40:43], v25, s[16:19], 0 offen offset:2048// 00000000B5D4: E05C1800 80842819
	s_waitcnt lgkmcnt(0)                                       // 00000000B5DC: BF8CC07F
	s_barrier                                                  // 00000000B5E0: BF8A0000
	ds_read_b32 v64, v10                                       // 00000000B5E4: D86C0000 4000000A
	buffer_load_dwordx4 a[44:47], v25, s[16:19], 0 offen offset:3072// 00000000B5EC: E05C1C00 80842C19
	ds_read_b32 v65, v10 offset:64                             // 00000000B5F4: D86C0040 4100000A
	ds_read_b32 v66, v10 offset:128                            // 00000000B5FC: D86C0080 4200000A
	ds_read_b32 v67, v10 offset:192                            // 00000000B604: D86C00C0 4300000A
	ds_read_b32 v68, v10 offset:256                            // 00000000B60C: D86C0100 4400000A
	ds_read_b32 v69, v10 offset:320                            // 00000000B614: D86C0140 4500000A
	ds_read_b32 v70, v10 offset:384                            // 00000000B61C: D86C0180 4600000A
	ds_read_b32 v71, v10 offset:448                            // 00000000B624: D86C01C0 4700000A
	ds_read_b32 v72, v10 offset:512                            // 00000000B62C: D86C0200 4800000A
	buffer_load_dwordx4 a[48:51], v26, s[16:19], 0 offen       // 00000000B634: E05C1000 8084301A
	ds_read_b32 v73, v10 offset:576                            // 00000000B63C: D86C0240 4900000A
	ds_read_b32 v74, v10 offset:640                            // 00000000B644: D86C0280 4A00000A
	ds_read_b32 v75, v10 offset:704                            // 00000000B64C: D86C02C0 4B00000A
	ds_read_b32 v76, v10 offset:768                            // 00000000B654: D86C0300 4C00000A
	ds_read_b32 v77, v10 offset:832                            // 00000000B65C: D86C0340 4D00000A
	ds_read_b32 v78, v10 offset:896                            // 00000000B664: D86C0380 4E00000A
	ds_read_b32 v79, v10 offset:960                            // 00000000B66C: D86C03C0 4F00000A
	buffer_load_dwordx4 a[52:55], v26, s[16:19], 0 offen offset:1024// 00000000B674: E05C1400 8084341A
	buffer_load_dwordx4 a[56:59], v26, s[16:19], 0 offen offset:2048// 00000000B67C: E05C1800 8084381A
	s_waitcnt lgkmcnt(0)                                       // 00000000B684: BF8CC07F
	v_max3_f32 v50, v64, v65, v50                              // 00000000B688: D1D30032 04CA8340
	v_max3_f32 v50, v66, v67, v50                              // 00000000B690: D1D30032 04CA8742
	v_max3_f32 v50, v68, v69, v50                              // 00000000B698: D1D30032 04CA8B44
	v_max3_f32 v50, v70, v71, v50                              // 00000000B6A0: D1D30032 04CA8F46
	v_max3_f32 v50, v72, v73, v50                              // 00000000B6A8: D1D30032 04CA9348
	v_max3_f32 v50, v74, v75, v50                              // 00000000B6B0: D1D30032 04CA974A
	v_max3_f32 v50, v76, v77, v50                              // 00000000B6B8: D1D30032 04CA9B4C
	v_max3_f32 v50, v78, v79, v50                              // 00000000B6C0: D1D30032 04CA9F4E
	buffer_load_dwordx4 a[60:63], v26, s[16:19], 0 offen offset:3072// 00000000B6C8: E05C1C00 80843C1A
	v_cmp_eq_u32_e64 s[40:41], v55, v14                        // 00000000B6D0: D0CA0028 00021D37
	s_nop 1                                                    // 00000000B6D8: BF800001
	v_max_f32_e32 v16, v50, v14                                // 00000000B6DC: 16201D32
	v_sub_f32_e32 v51, v14, v16                                // 00000000B6E0: 0466210E
	v_cndmask_b32_e64 v51, v51, 0, s[40:41]                    // 00000000B6E4: D1000033 00A10133
	v_mov_b32_e32 v14, v16                                     // 00000000B6EC: 7E1C0310
	v_mul_f32_e32 v53, s64, v16                                // 00000000B6F0: 0A6A2040
	v_mul_f32_e32 v51, s64, v51                                // 00000000B6F4: 0A666640
	v_exp_f32_e32 v51, v51                                     // 00000000B6F8: 7E664133
	buffer_load_dwordx4 a[128:131], v192, s[20:23], 0 offen    // 00000000B6FC: E05C1000 808580C0
	v_fma_f32 v112, v112, s64, -v53                            // 00000000B704: D1CB0070 84D48170
	v_fma_f32 v113, v113, s64, -v53                            // 00000000B70C: D1CB0071 84D48171
	v_fma_f32 v114, v114, s64, -v53                            // 00000000B714: D1CB0072 84D48172
	v_fma_f32 v115, v115, s64, -v53                            // 00000000B71C: D1CB0073 84D48173
	v_fma_f32 v116, v116, s64, -v53                            // 00000000B724: D1CB0074 84D48174
	v_fma_f32 v117, v117, s64, -v53                            // 00000000B72C: D1CB0075 84D48175
	v_fma_f32 v118, v118, s64, -v53                            // 00000000B734: D1CB0076 84D48176
	v_fma_f32 v119, v119, s64, -v53                            // 00000000B73C: D1CB0077 84D48177
	v_fma_f32 v120, v120, s64, -v53                            // 00000000B744: D1CB0078 84D48178
	v_fma_f32 v121, v121, s64, -v53                            // 00000000B74C: D1CB0079 84D48179
	v_fma_f32 v122, v122, s64, -v53                            // 00000000B754: D1CB007A 84D4817A
	v_fma_f32 v123, v123, s64, -v53                            // 00000000B75C: D1CB007B 84D4817B
	v_fma_f32 v124, v124, s64, -v53                            // 00000000B764: D1CB007C 84D4817C
	v_fma_f32 v125, v125, s64, -v53                            // 00000000B76C: D1CB007D 84D4817D
	v_fma_f32 v126, v126, s64, -v53                            // 00000000B774: D1CB007E 84D4817E
	v_fma_f32 v127, v127, s64, -v53                            // 00000000B77C: D1CB007F 84D4817F
	v_exp_f32_e32 v112, v112                                   // 00000000B784: 7EE04170
	v_exp_f32_e32 v113, v113                                   // 00000000B788: 7EE24171
	v_exp_f32_e32 v114, v114                                   // 00000000B78C: 7EE44172
	v_exp_f32_e32 v115, v115                                   // 00000000B790: 7EE64173
	v_exp_f32_e32 v116, v116                                   // 00000000B794: 7EE84174
	v_exp_f32_e32 v117, v117                                   // 00000000B798: 7EEA4175
	v_exp_f32_e32 v118, v118                                   // 00000000B79C: 7EEC4176
	v_exp_f32_e32 v119, v119                                   // 00000000B7A0: 7EEE4177
	v_exp_f32_e32 v120, v120                                   // 00000000B7A4: 7EF04178
	v_exp_f32_e32 v121, v121                                   // 00000000B7A8: 7EF24179
	v_exp_f32_e32 v122, v122                                   // 00000000B7AC: 7EF4417A
	v_exp_f32_e32 v123, v123                                   // 00000000B7B0: 7EF6417B
	v_exp_f32_e32 v124, v124                                   // 00000000B7B4: 7EF8417C
	v_exp_f32_e32 v125, v125                                   // 00000000B7B8: 7EFA417D
	v_exp_f32_e32 v126, v126                                   // 00000000B7BC: 7EFC417E
	v_exp_f32_e32 v127, v127                                   // 00000000B7C0: 7EFE417F
	buffer_load_dwordx4 a[132:135], v193, s[20:23], 0 offen    // 00000000B7C4: E05C1000 808584C1
	v_mul_f32_e32 v43, v51, v43                                // 00000000B7CC: 0A565733
	v_mov_b32_e32 v45, v112                                    // 00000000B7D0: 7E5A0370
	v_add_f32_e32 v45, v113, v45                               // 00000000B7D4: 025A5B71
	v_add_f32_e32 v45, v114, v45                               // 00000000B7D8: 025A5B72
	v_add_f32_e32 v45, v115, v45                               // 00000000B7DC: 025A5B73
	v_add_f32_e32 v45, v116, v45                               // 00000000B7E0: 025A5B74
	v_add_f32_e32 v45, v117, v45                               // 00000000B7E4: 025A5B75
	v_add_f32_e32 v45, v118, v45                               // 00000000B7E8: 025A5B76
	v_add_f32_e32 v45, v119, v45                               // 00000000B7EC: 025A5B77
	v_add_f32_e32 v45, v120, v45                               // 00000000B7F0: 025A5B78
	v_add_f32_e32 v45, v121, v45                               // 00000000B7F4: 025A5B79
	v_add_f32_e32 v45, v122, v45                               // 00000000B7F8: 025A5B7A
	v_add_f32_e32 v45, v123, v45                               // 00000000B7FC: 025A5B7B
	v_add_f32_e32 v45, v124, v45                               // 00000000B800: 025A5B7C
	v_add_f32_e32 v45, v125, v45                               // 00000000B804: 025A5B7D
	v_add_f32_e32 v45, v126, v45                               // 00000000B808: 025A5B7E
	v_add_f32_e32 v45, v127, v45                               // 00000000B80C: 025A5B7F
	v_add_f32_e32 v43, v45, v43                                // 00000000B810: 0256572D
	buffer_load_dwordx4 a[136:139], v194, s[20:23], 0 offen    // 00000000B814: E05C1000 808588C2
	v_cmp_u_f32_e64 s[40:41], v112, v112                       // 00000000B81C: D0480028 0002E170
	v_add3_u32 v19, v112, v22, 1                               // 00000000B824: D1FF0013 02062D70
	v_cndmask_b32_e64 v39, v19, v21, s[40:41]                  // 00000000B82C: D1000027 00A22B13
	v_cmp_u_f32_e64 s[40:41], v113, v113                       // 00000000B834: D0480028 0002E371
	v_add3_u32 v19, v113, v22, 1                               // 00000000B83C: D1FF0013 02062D71
	v_cndmask_b32_e64 v40, v19, v21, s[40:41]                  // 00000000B844: D1000028 00A22B13
	v_perm_b32 v112, v40, v39, s52                             // 00000000B84C: D1ED0070 00D24F28
	v_cmp_u_f32_e64 s[40:41], v114, v114                       // 00000000B854: D0480028 0002E572
	v_add3_u32 v19, v114, v22, 1                               // 00000000B85C: D1FF0013 02062D72
	v_cndmask_b32_e64 v39, v19, v21, s[40:41]                  // 00000000B864: D1000027 00A22B13
	v_cmp_u_f32_e64 s[40:41], v115, v115                       // 00000000B86C: D0480028 0002E773
	v_add3_u32 v19, v115, v22, 1                               // 00000000B874: D1FF0013 02062D73
	v_cndmask_b32_e64 v40, v19, v21, s[40:41]                  // 00000000B87C: D1000028 00A22B13
	v_perm_b32 v113, v40, v39, s52                             // 00000000B884: D1ED0071 00D24F28
	v_cmp_u_f32_e64 s[40:41], v116, v116                       // 00000000B88C: D0480028 0002E974
	v_add3_u32 v19, v116, v22, 1                               // 00000000B894: D1FF0013 02062D74
	v_cndmask_b32_e64 v39, v19, v21, s[40:41]                  // 00000000B89C: D1000027 00A22B13
	v_cmp_u_f32_e64 s[40:41], v117, v117                       // 00000000B8A4: D0480028 0002EB75
	v_add3_u32 v19, v117, v22, 1                               // 00000000B8AC: D1FF0013 02062D75
	v_cndmask_b32_e64 v40, v19, v21, s[40:41]                  // 00000000B8B4: D1000028 00A22B13
	v_perm_b32 v114, v40, v39, s52                             // 00000000B8BC: D1ED0072 00D24F28
	v_cmp_u_f32_e64 s[40:41], v118, v118                       // 00000000B8C4: D0480028 0002ED76
	v_add3_u32 v19, v118, v22, 1                               // 00000000B8CC: D1FF0013 02062D76
	v_cndmask_b32_e64 v39, v19, v21, s[40:41]                  // 00000000B8D4: D1000027 00A22B13
	v_cmp_u_f32_e64 s[40:41], v119, v119                       // 00000000B8DC: D0480028 0002EF77
	v_add3_u32 v19, v119, v22, 1                               // 00000000B8E4: D1FF0013 02062D77
	v_cndmask_b32_e64 v40, v19, v21, s[40:41]                  // 00000000B8EC: D1000028 00A22B13
	v_perm_b32 v115, v40, v39, s52                             // 00000000B8F4: D1ED0073 00D24F28
	v_cmp_u_f32_e64 s[40:41], v120, v120                       // 00000000B8FC: D0480028 0002F178
	v_add3_u32 v19, v120, v22, 1                               // 00000000B904: D1FF0013 02062D78
	v_cndmask_b32_e64 v39, v19, v21, s[40:41]                  // 00000000B90C: D1000027 00A22B13
	v_cmp_u_f32_e64 s[40:41], v121, v121                       // 00000000B914: D0480028 0002F379
	v_add3_u32 v19, v121, v22, 1                               // 00000000B91C: D1FF0013 02062D79
	v_cndmask_b32_e64 v40, v19, v21, s[40:41]                  // 00000000B924: D1000028 00A22B13
	v_perm_b32 v116, v40, v39, s52                             // 00000000B92C: D1ED0074 00D24F28
	v_cmp_u_f32_e64 s[40:41], v122, v122                       // 00000000B934: D0480028 0002F57A
	v_add3_u32 v19, v122, v22, 1                               // 00000000B93C: D1FF0013 02062D7A
	v_cndmask_b32_e64 v39, v19, v21, s[40:41]                  // 00000000B944: D1000027 00A22B13
	v_cmp_u_f32_e64 s[40:41], v123, v123                       // 00000000B94C: D0480028 0002F77B
	v_add3_u32 v19, v123, v22, 1                               // 00000000B954: D1FF0013 02062D7B
	v_cndmask_b32_e64 v40, v19, v21, s[40:41]                  // 00000000B95C: D1000028 00A22B13
	v_perm_b32 v117, v40, v39, s52                             // 00000000B964: D1ED0075 00D24F28
	v_cmp_u_f32_e64 s[40:41], v124, v124                       // 00000000B96C: D0480028 0002F97C
	v_add3_u32 v19, v124, v22, 1                               // 00000000B974: D1FF0013 02062D7C
	v_cndmask_b32_e64 v39, v19, v21, s[40:41]                  // 00000000B97C: D1000027 00A22B13
	v_cmp_u_f32_e64 s[40:41], v125, v125                       // 00000000B984: D0480028 0002FB7D
	v_add3_u32 v19, v125, v22, 1                               // 00000000B98C: D1FF0013 02062D7D
	v_cndmask_b32_e64 v40, v19, v21, s[40:41]                  // 00000000B994: D1000028 00A22B13
	v_perm_b32 v118, v40, v39, s52                             // 00000000B99C: D1ED0076 00D24F28
	v_cmp_u_f32_e64 s[40:41], v126, v126                       // 00000000B9A4: D0480028 0002FD7E
	v_add3_u32 v19, v126, v22, 1                               // 00000000B9AC: D1FF0013 02062D7E
	v_cndmask_b32_e64 v39, v19, v21, s[40:41]                  // 00000000B9B4: D1000027 00A22B13
	v_cmp_u_f32_e64 s[40:41], v127, v127                       // 00000000B9BC: D0480028 0002FF7F
	v_add3_u32 v19, v127, v22, 1                               // 00000000B9C4: D1FF0013 02062D7F
	v_cndmask_b32_e64 v40, v19, v21, s[40:41]                  // 00000000B9CC: D1000028 00A22B13
	v_perm_b32 v119, v40, v39, s52                             // 00000000B9D4: D1ED0077 00D24F28
	buffer_load_dwordx4 a[140:143], v195, s[20:23], 0 offen    // 00000000B9DC: E05C1000 80858CC3
	buffer_load_dwordx4 a[144:147], v196, s[20:23], 0 offen    // 00000000B9E4: E05C1000 808590C4
	ds_write_b64 v13, v[112:113] offset:4096                   // 00000000B9EC: D89A1000 0000700D
	ds_write_b64 v13, v[114:115] offset:6144                   // 00000000B9F4: D89A1800 0000720D
	ds_write_b64 v13, v[116:117] offset:8192                   // 00000000B9FC: D89A2000 0000740D
	ds_write_b64 v13, v[118:119] offset:10240                  // 00000000BA04: D89A2800 0000760D
	buffer_load_dwordx4 a[148:151], v197, s[20:23], 0 offen    // 00000000BA0C: E05C1000 808594C5
	s_waitcnt lgkmcnt(0)                                       // 00000000BA14: BF8CC07F
	s_barrier                                                  // 00000000BA18: BF8A0000
	ds_read_b64 v[112:113], v12 offset:4096                    // 00000000BA1C: D8EC1000 7000000C
	ds_read_b64 v[114:115], v12 offset:4224                    // 00000000BA24: D8EC1080 7200000C
	ds_read_b64 v[116:117], v12 offset:5120                    // 00000000BA2C: D8EC1400 7400000C
	ds_read_b64 v[118:119], v12 offset:5248                    // 00000000BA34: D8EC1480 7600000C
	ds_read_b64 v[120:121], v12 offset:6144                    // 00000000BA3C: D8EC1800 7800000C
	ds_read_b64 v[122:123], v12 offset:6272                    // 00000000BA44: D8EC1880 7A00000C
	ds_read_b64 v[124:125], v12 offset:7168                    // 00000000BA4C: D8EC1C00 7C00000C
	ds_read_b64 v[126:127], v12 offset:7296                    // 00000000BA54: D8EC1C80 7E00000C
	ds_read_b64 v[128:129], v12 offset:8192                    // 00000000BA5C: D8EC2000 8000000C
	ds_read_b64 v[130:131], v12 offset:8320                    // 00000000BA64: D8EC2080 8200000C
	ds_read_b64 v[132:133], v12 offset:9216                    // 00000000BA6C: D8EC2400 8400000C
	ds_read_b64 v[134:135], v12 offset:9344                    // 00000000BA74: D8EC2480 8600000C
	ds_read_b64 v[136:137], v12 offset:10240                   // 00000000BA7C: D8EC2800 8800000C
	ds_read_b64 v[138:139], v12 offset:10368                   // 00000000BA84: D8EC2880 8A00000C
	ds_read_b64 v[140:141], v12 offset:11264                   // 00000000BA8C: D8EC2C00 8C00000C
	ds_read_b64 v[142:143], v12 offset:11392                   // 00000000BA94: D8EC2C80 8E00000C
	buffer_load_dwordx4 a[152:155], v198, s[20:23], 0 offen    // 00000000BA9C: E05C1000 808598C6
	buffer_load_dwordx4 a[156:159], v199, s[20:23], 0 offen    // 00000000BAA4: E05C1000 80859CC7
	s_waitcnt lgkmcnt(0)                                       // 00000000BAAC: BF8CC07F
	s_nop 8                                                    // 00000000BAB0: BF800008
	v_mov_b32_e32 v50, v144                                    // 00000000BAB4: 7E640390
	v_max3_f32 v50, v144, v145, v50                            // 00000000BAB8: D1D30032 04CB2390
	v_max3_f32 v50, v146, v147, v50                            // 00000000BAC0: D1D30032 04CB2792
	v_max3_f32 v50, v148, v149, v50                            // 00000000BAC8: D1D30032 04CB2B94
	v_max3_f32 v50, v150, v151, v50                            // 00000000BAD0: D1D30032 04CB2F96
	v_max3_f32 v50, v152, v153, v50                            // 00000000BAD8: D1D30032 04CB3398
	v_max3_f32 v50, v154, v155, v50                            // 00000000BAE0: D1D30032 04CB379A
	v_max3_f32 v50, v156, v157, v50                            // 00000000BAE8: D1D30032 04CB3B9C
	v_max3_f32 v50, v158, v159, v50                            // 00000000BAF0: D1D30032 04CB3F9E
	ds_write_b32 v11, v50                                      // 00000000BAF8: D81A0000 0000320B
	s_waitcnt lgkmcnt(0)                                       // 00000000BB00: BF8CC07F
	s_barrier                                                  // 00000000BB04: BF8A0000
	ds_read_b32 v64, v10                                       // 00000000BB08: D86C0000 4000000A
	ds_read_b32 v65, v10 offset:64                             // 00000000BB10: D86C0040 4100000A
	ds_read_b32 v66, v10 offset:128                            // 00000000BB18: D86C0080 4200000A
	ds_read_b32 v67, v10 offset:192                            // 00000000BB20: D86C00C0 4300000A
	ds_read_b32 v68, v10 offset:256                            // 00000000BB28: D86C0100 4400000A
	ds_read_b32 v69, v10 offset:320                            // 00000000BB30: D86C0140 4500000A
	ds_read_b32 v70, v10 offset:384                            // 00000000BB38: D86C0180 4600000A
	ds_read_b32 v71, v10 offset:448                            // 00000000BB40: D86C01C0 4700000A
	ds_read_b32 v72, v10 offset:512                            // 00000000BB48: D86C0200 4800000A
	ds_read_b32 v73, v10 offset:576                            // 00000000BB50: D86C0240 4900000A
	ds_read_b32 v74, v10 offset:640                            // 00000000BB58: D86C0280 4A00000A
	ds_read_b32 v75, v10 offset:704                            // 00000000BB60: D86C02C0 4B00000A
	ds_read_b32 v76, v10 offset:768                            // 00000000BB68: D86C0300 4C00000A
	ds_read_b32 v77, v10 offset:832                            // 00000000BB70: D86C0340 4D00000A
	ds_read_b32 v78, v10 offset:896                            // 00000000BB78: D86C0380 4E00000A
	ds_read_b32 v79, v10 offset:960                            // 00000000BB80: D86C03C0 4F00000A
	s_waitcnt lgkmcnt(0)                                       // 00000000BB88: BF8CC07F
	v_max3_f32 v50, v64, v65, v50                              // 00000000BB8C: D1D30032 04CA8340
	v_max3_f32 v50, v66, v67, v50                              // 00000000BB94: D1D30032 04CA8742
	v_max3_f32 v50, v68, v69, v50                              // 00000000BB9C: D1D30032 04CA8B44
	v_max3_f32 v50, v70, v71, v50                              // 00000000BBA4: D1D30032 04CA8F46
	v_max3_f32 v50, v72, v73, v50                              // 00000000BBAC: D1D30032 04CA9348
	v_max3_f32 v50, v74, v75, v50                              // 00000000BBB4: D1D30032 04CA974A
	v_max3_f32 v50, v76, v77, v50                              // 00000000BBBC: D1D30032 04CA9B4C
	v_max3_f32 v50, v78, v79, v50                              // 00000000BBC4: D1D30032 04CA9F4E
	v_cmp_eq_u32_e64 s[40:41], v55, v15                        // 00000000BBCC: D0CA0028 00021F37
	s_nop 1                                                    // 00000000BBD4: BF800001
	v_max_f32_e32 v16, v50, v15                                // 00000000BBD8: 16201F32
	v_sub_f32_e32 v52, v15, v16                                // 00000000BBDC: 0468210F
	v_cndmask_b32_e64 v52, v52, 0, s[40:41]                    // 00000000BBE0: D1000034 00A10134
	v_mov_b32_e32 v15, v16                                     // 00000000BBE8: 7E1E0310
	v_mul_f32_e32 v53, s64, v16                                // 00000000BBEC: 0A6A2040
	v_mul_f32_e32 v52, s64, v52                                // 00000000BBF0: 0A686840
	v_exp_f32_e32 v52, v52                                     // 00000000BBF4: 7E684134
	v_fma_f32 v144, v144, s64, -v53                            // 00000000BBF8: D1CB0090 84D48190
	v_fma_f32 v145, v145, s64, -v53                            // 00000000BC00: D1CB0091 84D48191
	v_fma_f32 v146, v146, s64, -v53                            // 00000000BC08: D1CB0092 84D48192
	v_fma_f32 v147, v147, s64, -v53                            // 00000000BC10: D1CB0093 84D48193
	v_fma_f32 v148, v148, s64, -v53                            // 00000000BC18: D1CB0094 84D48194
	v_fma_f32 v149, v149, s64, -v53                            // 00000000BC20: D1CB0095 84D48195
	v_fma_f32 v150, v150, s64, -v53                            // 00000000BC28: D1CB0096 84D48196
	v_fma_f32 v151, v151, s64, -v53                            // 00000000BC30: D1CB0097 84D48197
	v_fma_f32 v152, v152, s64, -v53                            // 00000000BC38: D1CB0098 84D48198
	v_fma_f32 v153, v153, s64, -v53                            // 00000000BC40: D1CB0099 84D48199
	v_fma_f32 v154, v154, s64, -v53                            // 00000000BC48: D1CB009A 84D4819A
	v_fma_f32 v155, v155, s64, -v53                            // 00000000BC50: D1CB009B 84D4819B
	v_fma_f32 v156, v156, s64, -v53                            // 00000000BC58: D1CB009C 84D4819C
	v_fma_f32 v157, v157, s64, -v53                            // 00000000BC60: D1CB009D 84D4819D
	v_fma_f32 v158, v158, s64, -v53                            // 00000000BC68: D1CB009E 84D4819E
	v_fma_f32 v159, v159, s64, -v53                            // 00000000BC70: D1CB009F 84D4819F
	v_exp_f32_e32 v144, v144                                   // 00000000BC78: 7F204190
	v_exp_f32_e32 v145, v145                                   // 00000000BC7C: 7F224191
	v_exp_f32_e32 v146, v146                                   // 00000000BC80: 7F244192
	v_exp_f32_e32 v147, v147                                   // 00000000BC84: 7F264193
	v_exp_f32_e32 v148, v148                                   // 00000000BC88: 7F284194
	v_exp_f32_e32 v149, v149                                   // 00000000BC8C: 7F2A4195
	v_exp_f32_e32 v150, v150                                   // 00000000BC90: 7F2C4196
	v_exp_f32_e32 v151, v151                                   // 00000000BC94: 7F2E4197
	v_exp_f32_e32 v152, v152                                   // 00000000BC98: 7F304198
	v_exp_f32_e32 v153, v153                                   // 00000000BC9C: 7F324199
	v_exp_f32_e32 v154, v154                                   // 00000000BCA0: 7F34419A
	v_exp_f32_e32 v155, v155                                   // 00000000BCA4: 7F36419B
	v_exp_f32_e32 v156, v156                                   // 00000000BCA8: 7F38419C
	v_exp_f32_e32 v157, v157                                   // 00000000BCAC: 7F3A419D
	v_exp_f32_e32 v158, v158                                   // 00000000BCB0: 7F3C419E
	v_exp_f32_e32 v159, v159                                   // 00000000BCB4: 7F3E419F
	v_mul_f32_e32 v44, v52, v44                                // 00000000BCB8: 0A585934
	v_mov_b32_e32 v45, v144                                    // 00000000BCBC: 7E5A0390
	v_add_f32_e32 v45, v145, v45                               // 00000000BCC0: 025A5B91
	v_add_f32_e32 v45, v146, v45                               // 00000000BCC4: 025A5B92
	v_add_f32_e32 v45, v147, v45                               // 00000000BCC8: 025A5B93
	v_add_f32_e32 v45, v148, v45                               // 00000000BCCC: 025A5B94
	v_add_f32_e32 v45, v149, v45                               // 00000000BCD0: 025A5B95
	v_add_f32_e32 v45, v150, v45                               // 00000000BCD4: 025A5B96
	v_add_f32_e32 v45, v151, v45                               // 00000000BCD8: 025A5B97
	v_add_f32_e32 v45, v152, v45                               // 00000000BCDC: 025A5B98
	v_add_f32_e32 v45, v153, v45                               // 00000000BCE0: 025A5B99
	v_add_f32_e32 v45, v154, v45                               // 00000000BCE4: 025A5B9A
	v_add_f32_e32 v45, v155, v45                               // 00000000BCE8: 025A5B9B
	v_add_f32_e32 v45, v156, v45                               // 00000000BCEC: 025A5B9C
	v_add_f32_e32 v45, v157, v45                               // 00000000BCF0: 025A5B9D
	v_add_f32_e32 v45, v158, v45                               // 00000000BCF4: 025A5B9E
	v_add_f32_e32 v45, v159, v45                               // 00000000BCF8: 025A5B9F
	v_add_f32_e32 v44, v45, v44                                // 00000000BCFC: 0258592D
	v_cmp_u_f32_e64 s[40:41], v144, v144                       // 00000000BD00: D0480028 00032190
	v_add3_u32 v19, v144, v22, 1                               // 00000000BD08: D1FF0013 02062D90
	v_cndmask_b32_e64 v39, v19, v21, s[40:41]                  // 00000000BD10: D1000027 00A22B13
	v_cmp_u_f32_e64 s[40:41], v145, v145                       // 00000000BD18: D0480028 00032391
	v_add3_u32 v19, v145, v22, 1                               // 00000000BD20: D1FF0013 02062D91
	v_cndmask_b32_e64 v40, v19, v21, s[40:41]                  // 00000000BD28: D1000028 00A22B13
	v_perm_b32 v144, v40, v39, s52                             // 00000000BD30: D1ED0090 00D24F28
	v_cmp_u_f32_e64 s[40:41], v146, v146                       // 00000000BD38: D0480028 00032592
	v_add3_u32 v19, v146, v22, 1                               // 00000000BD40: D1FF0013 02062D92
	v_cndmask_b32_e64 v39, v19, v21, s[40:41]                  // 00000000BD48: D1000027 00A22B13
	v_cmp_u_f32_e64 s[40:41], v147, v147                       // 00000000BD50: D0480028 00032793
	v_add3_u32 v19, v147, v22, 1                               // 00000000BD58: D1FF0013 02062D93
	v_cndmask_b32_e64 v40, v19, v21, s[40:41]                  // 00000000BD60: D1000028 00A22B13
	v_perm_b32 v145, v40, v39, s52                             // 00000000BD68: D1ED0091 00D24F28
	v_cmp_u_f32_e64 s[40:41], v148, v148                       // 00000000BD70: D0480028 00032994
	v_add3_u32 v19, v148, v22, 1                               // 00000000BD78: D1FF0013 02062D94
	v_cndmask_b32_e64 v39, v19, v21, s[40:41]                  // 00000000BD80: D1000027 00A22B13
	v_cmp_u_f32_e64 s[40:41], v149, v149                       // 00000000BD88: D0480028 00032B95
	v_add3_u32 v19, v149, v22, 1                               // 00000000BD90: D1FF0013 02062D95
	v_cndmask_b32_e64 v40, v19, v21, s[40:41]                  // 00000000BD98: D1000028 00A22B13
	v_perm_b32 v146, v40, v39, s52                             // 00000000BDA0: D1ED0092 00D24F28
	v_cmp_u_f32_e64 s[40:41], v150, v150                       // 00000000BDA8: D0480028 00032D96
	v_add3_u32 v19, v150, v22, 1                               // 00000000BDB0: D1FF0013 02062D96
	v_cndmask_b32_e64 v39, v19, v21, s[40:41]                  // 00000000BDB8: D1000027 00A22B13
	v_cmp_u_f32_e64 s[40:41], v151, v151                       // 00000000BDC0: D0480028 00032F97
	v_add3_u32 v19, v151, v22, 1                               // 00000000BDC8: D1FF0013 02062D97
	v_cndmask_b32_e64 v40, v19, v21, s[40:41]                  // 00000000BDD0: D1000028 00A22B13
	v_perm_b32 v147, v40, v39, s52                             // 00000000BDD8: D1ED0093 00D24F28
	v_cmp_u_f32_e64 s[40:41], v152, v152                       // 00000000BDE0: D0480028 00033198
	v_add3_u32 v19, v152, v22, 1                               // 00000000BDE8: D1FF0013 02062D98
	v_cndmask_b32_e64 v39, v19, v21, s[40:41]                  // 00000000BDF0: D1000027 00A22B13
	v_cmp_u_f32_e64 s[40:41], v153, v153                       // 00000000BDF8: D0480028 00033399
	v_add3_u32 v19, v153, v22, 1                               // 00000000BE00: D1FF0013 02062D99
	v_cndmask_b32_e64 v40, v19, v21, s[40:41]                  // 00000000BE08: D1000028 00A22B13
	v_perm_b32 v148, v40, v39, s52                             // 00000000BE10: D1ED0094 00D24F28
	v_cmp_u_f32_e64 s[40:41], v154, v154                       // 00000000BE18: D0480028 0003359A
	v_add3_u32 v19, v154, v22, 1                               // 00000000BE20: D1FF0013 02062D9A
	v_cndmask_b32_e64 v39, v19, v21, s[40:41]                  // 00000000BE28: D1000027 00A22B13
	v_cmp_u_f32_e64 s[40:41], v155, v155                       // 00000000BE30: D0480028 0003379B
	v_add3_u32 v19, v155, v22, 1                               // 00000000BE38: D1FF0013 02062D9B
	v_cndmask_b32_e64 v40, v19, v21, s[40:41]                  // 00000000BE40: D1000028 00A22B13
	v_perm_b32 v149, v40, v39, s52                             // 00000000BE48: D1ED0095 00D24F28
	v_cmp_u_f32_e64 s[40:41], v156, v156                       // 00000000BE50: D0480028 0003399C
	v_add3_u32 v19, v156, v22, 1                               // 00000000BE58: D1FF0013 02062D9C
	v_cndmask_b32_e64 v39, v19, v21, s[40:41]                  // 00000000BE60: D1000027 00A22B13
	v_cmp_u_f32_e64 s[40:41], v157, v157                       // 00000000BE68: D0480028 00033B9D
	v_add3_u32 v19, v157, v22, 1                               // 00000000BE70: D1FF0013 02062D9D
	v_cndmask_b32_e64 v40, v19, v21, s[40:41]                  // 00000000BE78: D1000028 00A22B13
	v_perm_b32 v150, v40, v39, s52                             // 00000000BE80: D1ED0096 00D24F28
	v_cmp_u_f32_e64 s[40:41], v158, v158                       // 00000000BE88: D0480028 00033D9E
	v_add3_u32 v19, v158, v22, 1                               // 00000000BE90: D1FF0013 02062D9E
	v_cndmask_b32_e64 v39, v19, v21, s[40:41]                  // 00000000BE98: D1000027 00A22B13
	v_cmp_u_f32_e64 s[40:41], v159, v159                       // 00000000BEA0: D0480028 00033F9F
	v_add3_u32 v19, v159, v22, 1                               // 00000000BEA8: D1FF0013 02062D9F
	v_cndmask_b32_e64 v40, v19, v21, s[40:41]                  // 00000000BEB0: D1000028 00A22B13
	v_perm_b32 v151, v40, v39, s52                             // 00000000BEB8: D1ED0097 00D24F28
	ds_write_b64 v13, v[144:145] offset:4096                   // 00000000BEC0: D89A1000 0000900D
	ds_write_b64 v13, v[146:147] offset:6144                   // 00000000BEC8: D89A1800 0000920D
	ds_write_b64 v13, v[148:149] offset:8192                   // 00000000BED0: D89A2000 0000940D
	ds_write_b64 v13, v[150:151] offset:10240                  // 00000000BED8: D89A2800 0000960D
	s_waitcnt lgkmcnt(0)                                       // 00000000BEE0: BF8CC07F
	s_barrier                                                  // 00000000BEE4: BF8A0000
	ds_read_b64 v[144:145], v12 offset:4096                    // 00000000BEE8: D8EC1000 9000000C
	ds_read_b64 v[146:147], v12 offset:4224                    // 00000000BEF0: D8EC1080 9200000C
	ds_read_b64 v[148:149], v12 offset:5120                    // 00000000BEF8: D8EC1400 9400000C
	ds_read_b64 v[150:151], v12 offset:5248                    // 00000000BF00: D8EC1480 9600000C
	ds_read_b64 v[152:153], v12 offset:6144                    // 00000000BF08: D8EC1800 9800000C
	ds_read_b64 v[154:155], v12 offset:6272                    // 00000000BF10: D8EC1880 9A00000C
	ds_read_b64 v[156:157], v12 offset:7168                    // 00000000BF18: D8EC1C00 9C00000C
	ds_read_b64 v[158:159], v12 offset:7296                    // 00000000BF20: D8EC1C80 9E00000C
	ds_read_b64 v[160:161], v12 offset:8192                    // 00000000BF28: D8EC2000 A000000C
	ds_read_b64 v[162:163], v12 offset:8320                    // 00000000BF30: D8EC2080 A200000C
	ds_read_b64 v[164:165], v12 offset:9216                    // 00000000BF38: D8EC2400 A400000C
	ds_read_b64 v[166:167], v12 offset:9344                    // 00000000BF40: D8EC2480 A600000C
	ds_read_b64 v[168:169], v12 offset:10240                   // 00000000BF48: D8EC2800 A800000C
	ds_read_b64 v[170:171], v12 offset:10368                   // 00000000BF50: D8EC2880 AA00000C
	ds_read_b64 v[172:173], v12 offset:11264                   // 00000000BF58: D8EC2C00 AC00000C
	ds_read_b64 v[174:175], v12 offset:11392                   // 00000000BF60: D8EC2C80 AE00000C
	s_waitcnt lgkmcnt(0)                                       // 00000000BF68: BF8CC07F
	v_mul_f32_e32 v176, v51, v176                              // 00000000BF6C: 0B616133
	v_mul_f32_e32 v177, v51, v177                              // 00000000BF70: 0B636333
	v_mul_f32_e32 v178, v51, v178                              // 00000000BF74: 0B656533
	v_mul_f32_e32 v179, v51, v179                              // 00000000BF78: 0B676733
	v_mul_f32_e32 v180, v51, v180                              // 00000000BF7C: 0B696933
	v_mul_f32_e32 v181, v51, v181                              // 00000000BF80: 0B6B6B33
	v_mul_f32_e32 v182, v51, v182                              // 00000000BF84: 0B6D6D33
	v_mul_f32_e32 v183, v51, v183                              // 00000000BF88: 0B6F6F33
	v_mul_f32_e32 v184, v52, v184                              // 00000000BF8C: 0B717134
	v_mul_f32_e32 v185, v52, v185                              // 00000000BF90: 0B737334
	v_mul_f32_e32 v186, v52, v186                              // 00000000BF94: 0B757534
	v_mul_f32_e32 v187, v52, v187                              // 00000000BF98: 0B777734
	v_mul_f32_e32 v188, v52, v188                              // 00000000BF9C: 0B797934
	v_mul_f32_e32 v189, v52, v189                              // 00000000BFA0: 0B7B7B34
	v_mul_f32_e32 v190, v52, v190                              // 00000000BFA4: 0B7D7D34
	v_mul_f32_e32 v191, v52, v191                              // 00000000BFA8: 0B7F7F34
	s_waitcnt vmcnt(24)                                        // 00000000BFAC: BF8C4F78
	v_mfma_f32_16x16x16_bf16 v[176:179], a[192:193], v[112:113], v[176:179]// 00000000BFB0: D3E100B0 0EC2E1C0
	v_mfma_f32_16x16x16_bf16 v[176:179], a[194:195], v[114:115], v[176:179]// 00000000BFB8: D3E100B0 0EC2E5C2
	buffer_load_dwordx4 a[160:163], v192, s[20:23], 0 offen offset:1024// 00000000BFC0: E05C1400 8085A0C0
	v_mfma_f32_16x16x16_bf16 v[176:179], a[196:197], v[116:117], v[176:179]// 00000000BFC8: D3E100B0 0EC2E9C4
	v_mfma_f32_16x16x16_bf16 v[176:179], a[198:199], v[118:119], v[176:179]// 00000000BFD0: D3E100B0 0EC2EDC6
	v_mfma_f32_16x16x16_bf16 v[176:179], a[200:201], v[120:121], v[176:179]// 00000000BFD8: D3E100B0 0EC2F1C8
	v_mfma_f32_16x16x16_bf16 v[176:179], a[202:203], v[122:123], v[176:179]// 00000000BFE0: D3E100B0 0EC2F5CA
	buffer_load_dwordx4 a[164:167], v193, s[20:23], 0 offen offset:1024// 00000000BFE8: E05C1400 8085A4C1
	v_mfma_f32_16x16x16_bf16 v[176:179], a[204:205], v[124:125], v[176:179]// 00000000BFF0: D3E100B0 0EC2F9CC
	v_mfma_f32_16x16x16_bf16 v[176:179], a[206:207], v[126:127], v[176:179]// 00000000BFF8: D3E100B0 0EC2FDCE
	v_mfma_f32_16x16x16_bf16 v[176:179], a[208:209], v[128:129], v[176:179]// 00000000C000: D3E100B0 0EC301D0
	v_mfma_f32_16x16x16_bf16 v[176:179], a[210:211], v[130:131], v[176:179]// 00000000C008: D3E100B0 0EC305D2
	buffer_load_dwordx4 a[168:171], v194, s[20:23], 0 offen offset:1024// 00000000C010: E05C1400 8085A8C2
	v_mfma_f32_16x16x16_bf16 v[176:179], a[212:213], v[132:133], v[176:179]// 00000000C018: D3E100B0 0EC309D4
	v_mfma_f32_16x16x16_bf16 v[176:179], a[214:215], v[134:135], v[176:179]// 00000000C020: D3E100B0 0EC30DD6
	v_mfma_f32_16x16x16_bf16 v[176:179], a[216:217], v[136:137], v[176:179]// 00000000C028: D3E100B0 0EC311D8
	v_mfma_f32_16x16x16_bf16 v[176:179], a[218:219], v[138:139], v[176:179]// 00000000C030: D3E100B0 0EC315DA
	buffer_load_dwordx4 a[172:175], v195, s[20:23], 0 offen offset:1024// 00000000C038: E05C1400 8085ACC3
	v_mfma_f32_16x16x16_bf16 v[176:179], a[220:221], v[140:141], v[176:179]// 00000000C040: D3E100B0 0EC319DC
	v_mfma_f32_16x16x16_bf16 v[176:179], a[222:223], v[142:143], v[176:179]// 00000000C048: D3E100B0 0EC31DDE
	v_mfma_f32_16x16x16_bf16 v[180:183], a[224:225], v[112:113], v[180:183]// 00000000C050: D3E100B4 0ED2E1E0
	v_mfma_f32_16x16x16_bf16 v[180:183], a[226:227], v[114:115], v[180:183]// 00000000C058: D3E100B4 0ED2E5E2
	buffer_load_dwordx4 a[176:179], v196, s[20:23], 0 offen offset:1024// 00000000C060: E05C1400 8085B0C4
	v_mfma_f32_16x16x16_bf16 v[180:183], a[228:229], v[116:117], v[180:183]// 00000000C068: D3E100B4 0ED2E9E4
	v_mfma_f32_16x16x16_bf16 v[180:183], a[230:231], v[118:119], v[180:183]// 00000000C070: D3E100B4 0ED2EDE6
	v_mfma_f32_16x16x16_bf16 v[180:183], a[232:233], v[120:121], v[180:183]// 00000000C078: D3E100B4 0ED2F1E8
	v_mfma_f32_16x16x16_bf16 v[180:183], a[234:235], v[122:123], v[180:183]// 00000000C080: D3E100B4 0ED2F5EA
	buffer_load_dwordx4 a[180:183], v197, s[20:23], 0 offen offset:1024// 00000000C088: E05C1400 8085B4C5
	v_mfma_f32_16x16x16_bf16 v[180:183], a[236:237], v[124:125], v[180:183]// 00000000C090: D3E100B4 0ED2F9EC
	v_mfma_f32_16x16x16_bf16 v[180:183], a[238:239], v[126:127], v[180:183]// 00000000C098: D3E100B4 0ED2FDEE
	v_mfma_f32_16x16x16_bf16 v[180:183], a[240:241], v[128:129], v[180:183]// 00000000C0A0: D3E100B4 0ED301F0
	v_mfma_f32_16x16x16_bf16 v[180:183], a[242:243], v[130:131], v[180:183]// 00000000C0A8: D3E100B4 0ED305F2
	buffer_load_dwordx4 a[184:187], v198, s[20:23], 0 offen offset:1024// 00000000C0B0: E05C1400 8085B8C6
	v_mfma_f32_16x16x16_bf16 v[180:183], a[244:245], v[132:133], v[180:183]// 00000000C0B8: D3E100B4 0ED309F4
	v_mfma_f32_16x16x16_bf16 v[180:183], a[246:247], v[134:135], v[180:183]// 00000000C0C0: D3E100B4 0ED30DF6
	v_mfma_f32_16x16x16_bf16 v[180:183], a[248:249], v[136:137], v[180:183]// 00000000C0C8: D3E100B4 0ED311F8
	v_mfma_f32_16x16x16_bf16 v[180:183], a[250:251], v[138:139], v[180:183]// 00000000C0D0: D3E100B4 0ED315FA
	buffer_load_dwordx4 a[188:191], v199, s[20:23], 0 offen offset:1024// 00000000C0D8: E05C1400 8085BCC7
	v_mfma_f32_16x16x16_bf16 v[180:183], a[252:253], v[140:141], v[180:183]// 00000000C0E0: D3E100B4 0ED319FC
	v_mfma_f32_16x16x16_bf16 v[180:183], a[254:255], v[142:143], v[180:183]// 00000000C0E8: D3E100B4 0ED31DFE
	v_mfma_f32_16x16x16_bf16 v[184:187], a[192:193], v[144:145], v[184:187]// 00000000C0F0: D3E100B8 0EE321C0
	v_mfma_f32_16x16x16_bf16 v[184:187], a[194:195], v[146:147], v[184:187]// 00000000C0F8: D3E100B8 0EE325C2
	v_mfma_f32_16x16x16_bf16 v[184:187], a[196:197], v[148:149], v[184:187]// 00000000C100: D3E100B8 0EE329C4
	v_mfma_f32_16x16x16_bf16 v[184:187], a[198:199], v[150:151], v[184:187]// 00000000C108: D3E100B8 0EE32DC6
	v_mfma_f32_16x16x16_bf16 v[184:187], a[200:201], v[152:153], v[184:187]// 00000000C110: D3E100B8 0EE331C8
	v_mfma_f32_16x16x16_bf16 v[184:187], a[202:203], v[154:155], v[184:187]// 00000000C118: D3E100B8 0EE335CA
	v_mfma_f32_16x16x16_bf16 v[184:187], a[204:205], v[156:157], v[184:187]// 00000000C120: D3E100B8 0EE339CC
	v_mfma_f32_16x16x16_bf16 v[184:187], a[206:207], v[158:159], v[184:187]// 00000000C128: D3E100B8 0EE33DCE
	v_mfma_f32_16x16x16_bf16 v[184:187], a[208:209], v[160:161], v[184:187]// 00000000C130: D3E100B8 0EE341D0
	v_mfma_f32_16x16x16_bf16 v[184:187], a[210:211], v[162:163], v[184:187]// 00000000C138: D3E100B8 0EE345D2
	v_mfma_f32_16x16x16_bf16 v[184:187], a[212:213], v[164:165], v[184:187]// 00000000C140: D3E100B8 0EE349D4
	v_mfma_f32_16x16x16_bf16 v[184:187], a[214:215], v[166:167], v[184:187]// 00000000C148: D3E100B8 0EE34DD6
	v_mfma_f32_16x16x16_bf16 v[184:187], a[216:217], v[168:169], v[184:187]// 00000000C150: D3E100B8 0EE351D8
	v_mfma_f32_16x16x16_bf16 v[184:187], a[218:219], v[170:171], v[184:187]// 00000000C158: D3E100B8 0EE355DA
	v_mfma_f32_16x16x16_bf16 v[184:187], a[220:221], v[172:173], v[184:187]// 00000000C160: D3E100B8 0EE359DC
	v_mfma_f32_16x16x16_bf16 v[184:187], a[222:223], v[174:175], v[184:187]// 00000000C168: D3E100B8 0EE35DDE
	v_mfma_f32_16x16x16_bf16 v[188:191], a[224:225], v[144:145], v[188:191]// 00000000C170: D3E100BC 0EF321E0
	v_mfma_f32_16x16x16_bf16 v[188:191], a[226:227], v[146:147], v[188:191]// 00000000C178: D3E100BC 0EF325E2
	v_mfma_f32_16x16x16_bf16 v[188:191], a[228:229], v[148:149], v[188:191]// 00000000C180: D3E100BC 0EF329E4
	v_mfma_f32_16x16x16_bf16 v[188:191], a[230:231], v[150:151], v[188:191]// 00000000C188: D3E100BC 0EF32DE6
	v_mfma_f32_16x16x16_bf16 v[188:191], a[232:233], v[152:153], v[188:191]// 00000000C190: D3E100BC 0EF331E8
	v_mfma_f32_16x16x16_bf16 v[188:191], a[234:235], v[154:155], v[188:191]// 00000000C198: D3E100BC 0EF335EA
	v_mfma_f32_16x16x16_bf16 v[188:191], a[236:237], v[156:157], v[188:191]// 00000000C1A0: D3E100BC 0EF339EC
	v_mfma_f32_16x16x16_bf16 v[188:191], a[238:239], v[158:159], v[188:191]// 00000000C1A8: D3E100BC 0EF33DEE
	v_mfma_f32_16x16x16_bf16 v[188:191], a[240:241], v[160:161], v[188:191]// 00000000C1B0: D3E100BC 0EF341F0
	v_mfma_f32_16x16x16_bf16 v[188:191], a[242:243], v[162:163], v[188:191]// 00000000C1B8: D3E100BC 0EF345F2
	v_mfma_f32_16x16x16_bf16 v[188:191], a[244:245], v[164:165], v[188:191]// 00000000C1C0: D3E100BC 0EF349F4
	v_mfma_f32_16x16x16_bf16 v[188:191], a[246:247], v[166:167], v[188:191]// 00000000C1C8: D3E100BC 0EF34DF6
	v_mfma_f32_16x16x16_bf16 v[188:191], a[248:249], v[168:169], v[188:191]// 00000000C1D0: D3E100BC 0EF351F8
	v_mfma_f32_16x16x16_bf16 v[188:191], a[250:251], v[170:171], v[188:191]// 00000000C1D8: D3E100BC 0EF355FA
	v_mfma_f32_16x16x16_bf16 v[188:191], a[252:253], v[172:173], v[188:191]// 00000000C1E0: D3E100BC 0EF359FC
	v_mfma_f32_16x16x16_bf16 v[188:191], a[254:255], v[174:175], v[188:191]// 00000000C1E8: D3E100BC 0EF35DFE
	s_lshr_b32 s60, s70, 4                                     // 00000000C1F0: 8F3C8446
	s_add_u32 s60, 48, s60                                     // 00000000C1F4: 803C3CB0
	s_cmp_ge_u32 s60, s73                                      // 00000000C1F8: BF09493C
	s_cselect_b32 s56, 0, s56                                  // 00000000C1FC: 85383880
	v_mul_u32_u24_dpp v39, v18, v54 row_newbcast:0 row_mask:0xf bank_mask:0xf// 00000000C200: 104E6CFA FF015012
	v_mul_u32_u24_dpp v40, v18, v54 row_newbcast:4 row_mask:0xf bank_mask:0xf// 00000000C208: 10506CFA FF015412
	v_mul_u32_u24_dpp v41, v18, v54 row_newbcast:8 row_mask:0xf bank_mask:0xf// 00000000C210: 10526CFA FF015812
	v_mul_u32_u24_dpp v42, v18, v54 row_newbcast:12 row_mask:0xf bank_mask:0xf// 00000000C218: 10546CFA FF015C12
	v_add_u32_e32 v27, v39, v6                                 // 00000000C220: 68360D27
	v_add_u32_e32 v28, v40, v6                                 // 00000000C224: 68380D28
	v_add_u32_e32 v29, v41, v6                                 // 00000000C228: 683A0D29
	v_add_u32_e32 v30, v42, v6                                 // 00000000C22C: 683C0D2A
	v_mul_u32_u24_dpp v39, v18, v54 row_newbcast:1 row_mask:0xf bank_mask:0xf// 00000000C230: 104E6CFA FF015112
	v_mul_u32_u24_dpp v40, v18, v54 row_newbcast:2 row_mask:0xf bank_mask:0xf// 00000000C238: 10506CFA FF015212
	v_mul_u32_u24_dpp v41, v18, v54 row_newbcast:5 row_mask:0xf bank_mask:0xf// 00000000C240: 10526CFA FF015512
	v_mul_u32_u24_dpp v42, v18, v54 row_newbcast:6 row_mask:0xf bank_mask:0xf// 00000000C248: 10546CFA FF015612
	v_add_u32_e32 v200, v39, v7                                // 00000000C250: 69900F27
	v_add_u32_e32 v201, v40, v7                                // 00000000C254: 69920F28
	v_add_u32_e32 v202, v41, v7                                // 00000000C258: 69940F29
	v_add_u32_e32 v203, v42, v7                                // 00000000C25C: 69960F2A
	v_mul_u32_u24_dpp v39, v18, v54 row_newbcast:9 row_mask:0xf bank_mask:0xf// 00000000C260: 104E6CFA FF015912
	v_mul_u32_u24_dpp v40, v18, v54 row_newbcast:10 row_mask:0xf bank_mask:0xf// 00000000C268: 10506CFA FF015A12
	v_mul_u32_u24_dpp v41, v18, v54 row_newbcast:13 row_mask:0xf bank_mask:0xf// 00000000C270: 10526CFA FF015D12
	v_mul_u32_u24_dpp v42, v18, v54 row_newbcast:7 row_mask:0xf bank_mask:0xf// 00000000C278: 10546CFA FF015712
	v_add_u32_e32 v204, v39, v7                                // 00000000C280: 69980F27
	v_add_u32_e32 v205, v40, v7                                // 00000000C284: 699A0F28
	v_add_u32_e32 v206, v41, v7                                // 00000000C288: 699C0F29
	v_add_u32_e32 v207, v42, v7                                // 00000000C28C: 699E0F2A
	v_add_u32_e32 v1, s56, v1                                  // 00000000C290: 68020238
	s_addk_i32 s70, 0x100                                      // 00000000C294: B7460100
	s_cmp_lt_i32 s70, s71                                      // 00000000C298: BF044746
	s_cbranch_scc0 label_282A                                  // 00000000C29C: BF840001
	s_branch label_206B                                        // 00000000C2A0: BF82F841

000000000000c2a4 <label_282A>:
	s_nop 0                                                    // 00000000C2A4: BF800000
	s_nop 0                                                    // 00000000C2A8: BF800000
	s_branch label_2FEC                                        // 00000000C2AC: BF8207BF

000000000000c2b0 <label_282D>:
	s_waitcnt vmcnt(16) lgkmcnt(0)                             // 00000000C2B0: BF8C4070
	v_mfma_f32_16x16x16_bf16 v[112:115], a[0:1], v[80:81], 0   // 00000000C2B4: D3E10070 0A02A100
	buffer_load_dwordx4 a[64:67], v27, s[16:19], 0 offen       // 00000000C2BC: E05C1000 8084401B
	v_mfma_f32_16x16x16_bf16 v[112:115], a[2:3], v[82:83], v[112:115]// 00000000C2C4: D3E10070 0DC2A502
	v_mfma_f32_16x16x16_bf16 v[112:115], a[4:5], v[84:85], v[112:115]// 00000000C2CC: D3E10070 0DC2A904
	buffer_load_dword v17, v1, s[24:27], 0 offen               // 00000000C2D4: E0501000 80061101
	v_mfma_f32_16x16x16_bf16 v[112:115], a[6:7], v[86:87], v[112:115]// 00000000C2DC: D3E10070 0DC2AD06
	v_mfma_f32_16x16x16_bf16 v[112:115], a[8:9], v[88:89], v[112:115]// 00000000C2E4: D3E10070 0DC2B108
	buffer_load_dwordx4 a[68:71], v27, s[16:19], 0 offen offset:1024// 00000000C2EC: E05C1400 8084441B
	v_mfma_f32_16x16x16_bf16 v[112:115], a[10:11], v[90:91], v[112:115]// 00000000C2F4: D3E10070 0DC2B50A
	v_mfma_f32_16x16x16_bf16 v[112:115], a[12:13], v[92:93], v[112:115]// 00000000C2FC: D3E10070 0DC2B90C
	v_mfma_f32_16x16x16_bf16 v[112:115], a[14:15], v[94:95], v[112:115]// 00000000C304: D3E10070 0DC2BD0E
	v_mfma_f32_16x16x16_bf16 v[116:119], a[16:17], v[80:81], 0 // 00000000C30C: D3E10074 0A02A110
	buffer_load_dwordx4 a[72:75], v27, s[16:19], 0 offen offset:2048// 00000000C314: E05C1800 8084481B
	v_mfma_f32_16x16x16_bf16 v[116:119], a[18:19], v[82:83], v[116:119]// 00000000C31C: D3E10074 0DD2A512
	v_mfma_f32_16x16x16_bf16 v[116:119], a[20:21], v[84:85], v[116:119]// 00000000C324: D3E10074 0DD2A914
	v_mfma_f32_16x16x16_bf16 v[116:119], a[22:23], v[86:87], v[116:119]// 00000000C32C: D3E10074 0DD2AD16
	v_mfma_f32_16x16x16_bf16 v[116:119], a[24:25], v[88:89], v[116:119]// 00000000C334: D3E10074 0DD2B118
	buffer_load_dwordx4 a[76:79], v27, s[16:19], 0 offen offset:3072// 00000000C33C: E05C1C00 80844C1B
	v_mfma_f32_16x16x16_bf16 v[116:119], a[26:27], v[90:91], v[116:119]// 00000000C344: D3E10074 0DD2B51A
	v_mfma_f32_16x16x16_bf16 v[116:119], a[28:29], v[92:93], v[116:119]// 00000000C34C: D3E10074 0DD2B91C
	v_mfma_f32_16x16x16_bf16 v[116:119], a[30:31], v[94:95], v[116:119]// 00000000C354: D3E10074 0DD2BD1E
	v_mfma_f32_16x16x16_bf16 v[120:123], a[32:33], v[80:81], 0 // 00000000C35C: D3E10078 0A02A120
	buffer_load_dwordx4 a[80:83], v28, s[16:19], 0 offen       // 00000000C364: E05C1000 8084501C
	v_mfma_f32_16x16x16_bf16 v[120:123], a[34:35], v[82:83], v[120:123]// 00000000C36C: D3E10078 0DE2A522
	v_mfma_f32_16x16x16_bf16 v[120:123], a[36:37], v[84:85], v[120:123]// 00000000C374: D3E10078 0DE2A924
	v_mfma_f32_16x16x16_bf16 v[120:123], a[38:39], v[86:87], v[120:123]// 00000000C37C: D3E10078 0DE2AD26
	v_mfma_f32_16x16x16_bf16 v[120:123], a[40:41], v[88:89], v[120:123]// 00000000C384: D3E10078 0DE2B128
	buffer_load_dwordx4 a[84:87], v28, s[16:19], 0 offen offset:1024// 00000000C38C: E05C1400 8084541C
	v_mfma_f32_16x16x16_bf16 v[120:123], a[42:43], v[90:91], v[120:123]// 00000000C394: D3E10078 0DE2B52A
	v_mfma_f32_16x16x16_bf16 v[120:123], a[44:45], v[92:93], v[120:123]// 00000000C39C: D3E10078 0DE2B92C
	v_mfma_f32_16x16x16_bf16 v[120:123], a[46:47], v[94:95], v[120:123]// 00000000C3A4: D3E10078 0DE2BD2E
	v_mfma_f32_16x16x16_bf16 v[124:127], a[48:49], v[80:81], 0 // 00000000C3AC: D3E1007C 0A02A130
	buffer_load_dwordx4 a[88:91], v28, s[16:19], 0 offen offset:2048// 00000000C3B4: E05C1800 8084581C
	v_mfma_f32_16x16x16_bf16 v[124:127], a[50:51], v[82:83], v[124:127]// 00000000C3BC: D3E1007C 0DF2A532
	v_mfma_f32_16x16x16_bf16 v[124:127], a[52:53], v[84:85], v[124:127]// 00000000C3C4: D3E1007C 0DF2A934
	v_mfma_f32_16x16x16_bf16 v[124:127], a[54:55], v[86:87], v[124:127]// 00000000C3CC: D3E1007C 0DF2AD36
	v_mfma_f32_16x16x16_bf16 v[124:127], a[56:57], v[88:89], v[124:127]// 00000000C3D4: D3E1007C 0DF2B138
	buffer_load_dwordx4 a[92:95], v28, s[16:19], 0 offen offset:3072// 00000000C3DC: E05C1C00 80845C1C
	v_mfma_f32_16x16x16_bf16 v[124:127], a[58:59], v[90:91], v[124:127]// 00000000C3E4: D3E1007C 0DF2B53A
	v_mfma_f32_16x16x16_bf16 v[124:127], a[60:61], v[92:93], v[124:127]// 00000000C3EC: D3E1007C 0DF2B93C
	v_mfma_f32_16x16x16_bf16 v[124:127], a[62:63], v[94:95], v[124:127]// 00000000C3F4: D3E1007C 0DF2BD3E
	s_waitcnt vmcnt(16) lgkmcnt(0)                             // 00000000C3FC: BF8C4070
	v_mfma_f32_16x16x16_bf16 v[144:147], a[0:1], v[96:97], 0   // 00000000C400: D3E10090 0A02C100
	v_mfma_f32_16x16x16_bf16 v[144:147], a[2:3], v[98:99], v[144:147]// 00000000C408: D3E10090 0E42C502
	v_mfma_f32_16x16x16_bf16 v[144:147], a[4:5], v[100:101], v[144:147]// 00000000C410: D3E10090 0E42C904
	v_mfma_f32_16x16x16_bf16 v[144:147], a[6:7], v[102:103], v[144:147]// 00000000C418: D3E10090 0E42CD06
	v_mfma_f32_16x16x16_bf16 v[144:147], a[8:9], v[104:105], v[144:147]// 00000000C420: D3E10090 0E42D108
	v_mfma_f32_16x16x16_bf16 v[144:147], a[10:11], v[106:107], v[144:147]// 00000000C428: D3E10090 0E42D50A
	v_mfma_f32_16x16x16_bf16 v[144:147], a[12:13], v[108:109], v[144:147]// 00000000C430: D3E10090 0E42D90C
	v_mfma_f32_16x16x16_bf16 v[144:147], a[14:15], v[110:111], v[144:147]// 00000000C438: D3E10090 0E42DD0E
	v_mfma_f32_16x16x16_bf16 v[148:151], a[16:17], v[96:97], 0 // 00000000C440: D3E10094 0A02C110
	v_mfma_f32_16x16x16_bf16 v[148:151], a[18:19], v[98:99], v[148:151]// 00000000C448: D3E10094 0E52C512
	v_mfma_f32_16x16x16_bf16 v[148:151], a[20:21], v[100:101], v[148:151]// 00000000C450: D3E10094 0E52C914
	v_mfma_f32_16x16x16_bf16 v[148:151], a[22:23], v[102:103], v[148:151]// 00000000C458: D3E10094 0E52CD16
	v_mfma_f32_16x16x16_bf16 v[148:151], a[24:25], v[104:105], v[148:151]// 00000000C460: D3E10094 0E52D118
	v_mfma_f32_16x16x16_bf16 v[148:151], a[26:27], v[106:107], v[148:151]// 00000000C468: D3E10094 0E52D51A
	v_mfma_f32_16x16x16_bf16 v[148:151], a[28:29], v[108:109], v[148:151]// 00000000C470: D3E10094 0E52D91C
	v_mfma_f32_16x16x16_bf16 v[148:151], a[30:31], v[110:111], v[148:151]// 00000000C478: D3E10094 0E52DD1E
	v_mfma_f32_16x16x16_bf16 v[152:155], a[32:33], v[96:97], 0 // 00000000C480: D3E10098 0A02C120
	v_mfma_f32_16x16x16_bf16 v[152:155], a[34:35], v[98:99], v[152:155]// 00000000C488: D3E10098 0E62C522
	v_mfma_f32_16x16x16_bf16 v[152:155], a[36:37], v[100:101], v[152:155]// 00000000C490: D3E10098 0E62C924
	v_mfma_f32_16x16x16_bf16 v[152:155], a[38:39], v[102:103], v[152:155]// 00000000C498: D3E10098 0E62CD26
	v_mfma_f32_16x16x16_bf16 v[152:155], a[40:41], v[104:105], v[152:155]// 00000000C4A0: D3E10098 0E62D128
	v_mfma_f32_16x16x16_bf16 v[152:155], a[42:43], v[106:107], v[152:155]// 00000000C4A8: D3E10098 0E62D52A
	v_mfma_f32_16x16x16_bf16 v[152:155], a[44:45], v[108:109], v[152:155]// 00000000C4B0: D3E10098 0E62D92C
	v_mfma_f32_16x16x16_bf16 v[152:155], a[46:47], v[110:111], v[152:155]// 00000000C4B8: D3E10098 0E62DD2E
	v_mfma_f32_16x16x16_bf16 v[156:159], a[48:49], v[96:97], 0 // 00000000C4C0: D3E1009C 0A02C130
	v_mfma_f32_16x16x16_bf16 v[156:159], a[50:51], v[98:99], v[156:159]// 00000000C4C8: D3E1009C 0E72C532
	v_mfma_f32_16x16x16_bf16 v[156:159], a[52:53], v[100:101], v[156:159]// 00000000C4D0: D3E1009C 0E72C934
	v_mfma_f32_16x16x16_bf16 v[156:159], a[54:55], v[102:103], v[156:159]// 00000000C4D8: D3E1009C 0E72CD36
	v_mfma_f32_16x16x16_bf16 v[156:159], a[56:57], v[104:105], v[156:159]// 00000000C4E0: D3E1009C 0E72D138
	v_mfma_f32_16x16x16_bf16 v[156:159], a[58:59], v[106:107], v[156:159]// 00000000C4E8: D3E1009C 0E72D53A
	v_mfma_f32_16x16x16_bf16 v[156:159], a[60:61], v[108:109], v[156:159]// 00000000C4F0: D3E1009C 0E72D93C
	v_mfma_f32_16x16x16_bf16 v[156:159], a[62:63], v[110:111], v[156:159]// 00000000C4F8: D3E1009C 0E72DD3E
	buffer_load_dwordx4 a[96:99], v29, s[16:19], 0 offen       // 00000000C500: E05C1000 8084601D
	s_nop 8                                                    // 00000000C508: BF800008
	buffer_load_dwordx4 a[100:103], v29, s[16:19], 0 offen offset:1024// 00000000C50C: E05C1400 8084641D
	v_mov_b32_e32 v50, v112                                    // 00000000C514: 7E640370
	v_max3_f32 v50, v112, v113, v50                            // 00000000C518: D1D30032 04CAE370
	v_max3_f32 v50, v114, v115, v50                            // 00000000C520: D1D30032 04CAE772
	v_max3_f32 v50, v116, v117, v50                            // 00000000C528: D1D30032 04CAEB74
	v_max3_f32 v50, v118, v119, v50                            // 00000000C530: D1D30032 04CAEF76
	v_max3_f32 v50, v120, v121, v50                            // 00000000C538: D1D30032 04CAF378
	v_max3_f32 v50, v122, v123, v50                            // 00000000C540: D1D30032 04CAF77A
	v_max3_f32 v50, v124, v125, v50                            // 00000000C548: D1D30032 04CAFB7C
	v_max3_f32 v50, v126, v127, v50                            // 00000000C550: D1D30032 04CAFF7E
	ds_write_b32 v11, v50                                      // 00000000C558: D81A0000 0000320B
	buffer_load_dwordx4 a[104:107], v29, s[16:19], 0 offen offset:2048// 00000000C560: E05C1800 8084681D
	s_waitcnt lgkmcnt(0)                                       // 00000000C568: BF8CC07F
	s_barrier                                                  // 00000000C56C: BF8A0000
	ds_read_b32 v64, v10                                       // 00000000C570: D86C0000 4000000A
	buffer_load_dwordx4 a[108:111], v29, s[16:19], 0 offen offset:3072// 00000000C578: E05C1C00 80846C1D
	ds_read_b32 v65, v10 offset:64                             // 00000000C580: D86C0040 4100000A
	ds_read_b32 v66, v10 offset:128                            // 00000000C588: D86C0080 4200000A
	ds_read_b32 v67, v10 offset:192                            // 00000000C590: D86C00C0 4300000A
	ds_read_b32 v68, v10 offset:256                            // 00000000C598: D86C0100 4400000A
	ds_read_b32 v69, v10 offset:320                            // 00000000C5A0: D86C0140 4500000A
	ds_read_b32 v70, v10 offset:384                            // 00000000C5A8: D86C0180 4600000A
	ds_read_b32 v71, v10 offset:448                            // 00000000C5B0: D86C01C0 4700000A
	ds_read_b32 v72, v10 offset:512                            // 00000000C5B8: D86C0200 4800000A
	buffer_load_dwordx4 a[112:115], v30, s[16:19], 0 offen     // 00000000C5C0: E05C1000 8084701E
	ds_read_b32 v73, v10 offset:576                            // 00000000C5C8: D86C0240 4900000A
	ds_read_b32 v74, v10 offset:640                            // 00000000C5D0: D86C0280 4A00000A
	ds_read_b32 v75, v10 offset:704                            // 00000000C5D8: D86C02C0 4B00000A
	ds_read_b32 v76, v10 offset:768                            // 00000000C5E0: D86C0300 4C00000A
	ds_read_b32 v77, v10 offset:832                            // 00000000C5E8: D86C0340 4D00000A
	ds_read_b32 v78, v10 offset:896                            // 00000000C5F0: D86C0380 4E00000A
	ds_read_b32 v79, v10 offset:960                            // 00000000C5F8: D86C03C0 4F00000A
	buffer_load_dwordx4 a[116:119], v30, s[16:19], 0 offen offset:1024// 00000000C600: E05C1400 8084741E
	buffer_load_dwordx4 a[120:123], v30, s[16:19], 0 offen offset:2048// 00000000C608: E05C1800 8084781E
	s_waitcnt lgkmcnt(0)                                       // 00000000C610: BF8CC07F
	v_max3_f32 v50, v64, v65, v50                              // 00000000C614: D1D30032 04CA8340
	v_max3_f32 v50, v66, v67, v50                              // 00000000C61C: D1D30032 04CA8742
	v_max3_f32 v50, v68, v69, v50                              // 00000000C624: D1D30032 04CA8B44
	v_max3_f32 v50, v70, v71, v50                              // 00000000C62C: D1D30032 04CA8F46
	v_max3_f32 v50, v72, v73, v50                              // 00000000C634: D1D30032 04CA9348
	v_max3_f32 v50, v74, v75, v50                              // 00000000C63C: D1D30032 04CA974A
	v_max3_f32 v50, v76, v77, v50                              // 00000000C644: D1D30032 04CA9B4C
	v_max3_f32 v50, v78, v79, v50                              // 00000000C64C: D1D30032 04CA9F4E
	buffer_load_dwordx4 a[124:127], v30, s[16:19], 0 offen offset:3072// 00000000C654: E05C1C00 80847C1E
	v_cmp_eq_u32_e64 s[40:41], v55, v14                        // 00000000C65C: D0CA0028 00021D37
	s_nop 1                                                    // 00000000C664: BF800001
	v_max_f32_e32 v16, v50, v14                                // 00000000C668: 16201D32
	v_sub_f32_e32 v51, v14, v16                                // 00000000C66C: 0466210E
	v_cndmask_b32_e64 v51, v51, 0, s[40:41]                    // 00000000C670: D1000033 00A10133
	v_mov_b32_e32 v14, v16                                     // 00000000C678: 7E1C0310
	v_mul_f32_e32 v53, s64, v16                                // 00000000C67C: 0A6A2040
	v_mul_f32_e32 v51, s64, v51                                // 00000000C680: 0A666640
	v_exp_f32_e32 v51, v51                                     // 00000000C684: 7E664133
	buffer_load_dwordx4 a[192:195], v200, s[20:23], 0 offen    // 00000000C688: E05C1000 8085C0C8
	v_fma_f32 v112, v112, s64, -v53                            // 00000000C690: D1CB0070 84D48170
	v_fma_f32 v113, v113, s64, -v53                            // 00000000C698: D1CB0071 84D48171
	v_fma_f32 v114, v114, s64, -v53                            // 00000000C6A0: D1CB0072 84D48172
	v_fma_f32 v115, v115, s64, -v53                            // 00000000C6A8: D1CB0073 84D48173
	v_fma_f32 v116, v116, s64, -v53                            // 00000000C6B0: D1CB0074 84D48174
	v_fma_f32 v117, v117, s64, -v53                            // 00000000C6B8: D1CB0075 84D48175
	v_fma_f32 v118, v118, s64, -v53                            // 00000000C6C0: D1CB0076 84D48176
	v_fma_f32 v119, v119, s64, -v53                            // 00000000C6C8: D1CB0077 84D48177
	v_fma_f32 v120, v120, s64, -v53                            // 00000000C6D0: D1CB0078 84D48178
	v_fma_f32 v121, v121, s64, -v53                            // 00000000C6D8: D1CB0079 84D48179
	v_fma_f32 v122, v122, s64, -v53                            // 00000000C6E0: D1CB007A 84D4817A
	v_fma_f32 v123, v123, s64, -v53                            // 00000000C6E8: D1CB007B 84D4817B
	v_fma_f32 v124, v124, s64, -v53                            // 00000000C6F0: D1CB007C 84D4817C
	v_fma_f32 v125, v125, s64, -v53                            // 00000000C6F8: D1CB007D 84D4817D
	v_fma_f32 v126, v126, s64, -v53                            // 00000000C700: D1CB007E 84D4817E
	v_fma_f32 v127, v127, s64, -v53                            // 00000000C708: D1CB007F 84D4817F
	v_exp_f32_e32 v112, v112                                   // 00000000C710: 7EE04170
	v_exp_f32_e32 v113, v113                                   // 00000000C714: 7EE24171
	v_exp_f32_e32 v114, v114                                   // 00000000C718: 7EE44172
	v_exp_f32_e32 v115, v115                                   // 00000000C71C: 7EE64173
	v_exp_f32_e32 v116, v116                                   // 00000000C720: 7EE84174
	v_exp_f32_e32 v117, v117                                   // 00000000C724: 7EEA4175
	v_exp_f32_e32 v118, v118                                   // 00000000C728: 7EEC4176
	v_exp_f32_e32 v119, v119                                   // 00000000C72C: 7EEE4177
	v_exp_f32_e32 v120, v120                                   // 00000000C730: 7EF04178
	v_exp_f32_e32 v121, v121                                   // 00000000C734: 7EF24179
	v_exp_f32_e32 v122, v122                                   // 00000000C738: 7EF4417A
	v_exp_f32_e32 v123, v123                                   // 00000000C73C: 7EF6417B
	v_exp_f32_e32 v124, v124                                   // 00000000C740: 7EF8417C
	v_exp_f32_e32 v125, v125                                   // 00000000C744: 7EFA417D
	v_exp_f32_e32 v126, v126                                   // 00000000C748: 7EFC417E
	v_exp_f32_e32 v127, v127                                   // 00000000C74C: 7EFE417F
	buffer_load_dwordx4 a[196:199], v201, s[20:23], 0 offen    // 00000000C750: E05C1000 8085C4C9
	v_mul_f32_e32 v43, v51, v43                                // 00000000C758: 0A565733
	v_mov_b32_e32 v45, v112                                    // 00000000C75C: 7E5A0370
	v_add_f32_e32 v45, v113, v45                               // 00000000C760: 025A5B71
	v_add_f32_e32 v45, v114, v45                               // 00000000C764: 025A5B72
	v_add_f32_e32 v45, v115, v45                               // 00000000C768: 025A5B73
	v_add_f32_e32 v45, v116, v45                               // 00000000C76C: 025A5B74
	v_add_f32_e32 v45, v117, v45                               // 00000000C770: 025A5B75
	v_add_f32_e32 v45, v118, v45                               // 00000000C774: 025A5B76
	v_add_f32_e32 v45, v119, v45                               // 00000000C778: 025A5B77
	v_add_f32_e32 v45, v120, v45                               // 00000000C77C: 025A5B78
	v_add_f32_e32 v45, v121, v45                               // 00000000C780: 025A5B79
	v_add_f32_e32 v45, v122, v45                               // 00000000C784: 025A5B7A
	v_add_f32_e32 v45, v123, v45                               // 00000000C788: 025A5B7B
	v_add_f32_e32 v45, v124, v45                               // 00000000C78C: 025A5B7C
	v_add_f32_e32 v45, v125, v45                               // 00000000C790: 025A5B7D
	v_add_f32_e32 v45, v126, v45                               // 00000000C794: 025A5B7E
	v_add_f32_e32 v45, v127, v45                               // 00000000C798: 025A5B7F
	v_add_f32_e32 v43, v45, v43                                // 00000000C79C: 0256572D
	buffer_load_dwordx4 a[200:203], v202, s[20:23], 0 offen    // 00000000C7A0: E05C1000 8085C8CA
	v_cmp_u_f32_e64 s[40:41], v112, v112                       // 00000000C7A8: D0480028 0002E170
	v_add3_u32 v19, v112, v22, 1                               // 00000000C7B0: D1FF0013 02062D70
	v_cndmask_b32_e64 v39, v19, v21, s[40:41]                  // 00000000C7B8: D1000027 00A22B13
	v_cmp_u_f32_e64 s[40:41], v113, v113                       // 00000000C7C0: D0480028 0002E371
	v_add3_u32 v19, v113, v22, 1                               // 00000000C7C8: D1FF0013 02062D71
	v_cndmask_b32_e64 v40, v19, v21, s[40:41]                  // 00000000C7D0: D1000028 00A22B13
	v_perm_b32 v112, v40, v39, s52                             // 00000000C7D8: D1ED0070 00D24F28
	v_cmp_u_f32_e64 s[40:41], v114, v114                       // 00000000C7E0: D0480028 0002E572
	v_add3_u32 v19, v114, v22, 1                               // 00000000C7E8: D1FF0013 02062D72
	v_cndmask_b32_e64 v39, v19, v21, s[40:41]                  // 00000000C7F0: D1000027 00A22B13
	v_cmp_u_f32_e64 s[40:41], v115, v115                       // 00000000C7F8: D0480028 0002E773
	v_add3_u32 v19, v115, v22, 1                               // 00000000C800: D1FF0013 02062D73
	v_cndmask_b32_e64 v40, v19, v21, s[40:41]                  // 00000000C808: D1000028 00A22B13
	v_perm_b32 v113, v40, v39, s52                             // 00000000C810: D1ED0071 00D24F28
	v_cmp_u_f32_e64 s[40:41], v116, v116                       // 00000000C818: D0480028 0002E974
	v_add3_u32 v19, v116, v22, 1                               // 00000000C820: D1FF0013 02062D74
	v_cndmask_b32_e64 v39, v19, v21, s[40:41]                  // 00000000C828: D1000027 00A22B13
	v_cmp_u_f32_e64 s[40:41], v117, v117                       // 00000000C830: D0480028 0002EB75
	v_add3_u32 v19, v117, v22, 1                               // 00000000C838: D1FF0013 02062D75
	v_cndmask_b32_e64 v40, v19, v21, s[40:41]                  // 00000000C840: D1000028 00A22B13
	v_perm_b32 v114, v40, v39, s52                             // 00000000C848: D1ED0072 00D24F28
	v_cmp_u_f32_e64 s[40:41], v118, v118                       // 00000000C850: D0480028 0002ED76
	v_add3_u32 v19, v118, v22, 1                               // 00000000C858: D1FF0013 02062D76
	v_cndmask_b32_e64 v39, v19, v21, s[40:41]                  // 00000000C860: D1000027 00A22B13
	v_cmp_u_f32_e64 s[40:41], v119, v119                       // 00000000C868: D0480028 0002EF77
	v_add3_u32 v19, v119, v22, 1                               // 00000000C870: D1FF0013 02062D77
	v_cndmask_b32_e64 v40, v19, v21, s[40:41]                  // 00000000C878: D1000028 00A22B13
	v_perm_b32 v115, v40, v39, s52                             // 00000000C880: D1ED0073 00D24F28
	v_cmp_u_f32_e64 s[40:41], v120, v120                       // 00000000C888: D0480028 0002F178
	v_add3_u32 v19, v120, v22, 1                               // 00000000C890: D1FF0013 02062D78
	v_cndmask_b32_e64 v39, v19, v21, s[40:41]                  // 00000000C898: D1000027 00A22B13
	v_cmp_u_f32_e64 s[40:41], v121, v121                       // 00000000C8A0: D0480028 0002F379
	v_add3_u32 v19, v121, v22, 1                               // 00000000C8A8: D1FF0013 02062D79
	v_cndmask_b32_e64 v40, v19, v21, s[40:41]                  // 00000000C8B0: D1000028 00A22B13
	v_perm_b32 v116, v40, v39, s52                             // 00000000C8B8: D1ED0074 00D24F28
	v_cmp_u_f32_e64 s[40:41], v122, v122                       // 00000000C8C0: D0480028 0002F57A
	v_add3_u32 v19, v122, v22, 1                               // 00000000C8C8: D1FF0013 02062D7A
	v_cndmask_b32_e64 v39, v19, v21, s[40:41]                  // 00000000C8D0: D1000027 00A22B13
	v_cmp_u_f32_e64 s[40:41], v123, v123                       // 00000000C8D8: D0480028 0002F77B
	v_add3_u32 v19, v123, v22, 1                               // 00000000C8E0: D1FF0013 02062D7B
	v_cndmask_b32_e64 v40, v19, v21, s[40:41]                  // 00000000C8E8: D1000028 00A22B13
	v_perm_b32 v117, v40, v39, s52                             // 00000000C8F0: D1ED0075 00D24F28
	v_cmp_u_f32_e64 s[40:41], v124, v124                       // 00000000C8F8: D0480028 0002F97C
	v_add3_u32 v19, v124, v22, 1                               // 00000000C900: D1FF0013 02062D7C
	v_cndmask_b32_e64 v39, v19, v21, s[40:41]                  // 00000000C908: D1000027 00A22B13
	v_cmp_u_f32_e64 s[40:41], v125, v125                       // 00000000C910: D0480028 0002FB7D
	v_add3_u32 v19, v125, v22, 1                               // 00000000C918: D1FF0013 02062D7D
	v_cndmask_b32_e64 v40, v19, v21, s[40:41]                  // 00000000C920: D1000028 00A22B13
	v_perm_b32 v118, v40, v39, s52                             // 00000000C928: D1ED0076 00D24F28
	v_cmp_u_f32_e64 s[40:41], v126, v126                       // 00000000C930: D0480028 0002FD7E
	v_add3_u32 v19, v126, v22, 1                               // 00000000C938: D1FF0013 02062D7E
	v_cndmask_b32_e64 v39, v19, v21, s[40:41]                  // 00000000C940: D1000027 00A22B13
	v_cmp_u_f32_e64 s[40:41], v127, v127                       // 00000000C948: D0480028 0002FF7F
	v_add3_u32 v19, v127, v22, 1                               // 00000000C950: D1FF0013 02062D7F
	v_cndmask_b32_e64 v40, v19, v21, s[40:41]                  // 00000000C958: D1000028 00A22B13
	v_perm_b32 v119, v40, v39, s52                             // 00000000C960: D1ED0077 00D24F28
	buffer_load_dwordx4 a[204:207], v203, s[20:23], 0 offen    // 00000000C968: E05C1000 8085CCCB
	buffer_load_dwordx4 a[208:211], v204, s[20:23], 0 offen    // 00000000C970: E05C1000 8085D0CC
	ds_write_b64 v13, v[112:113] offset:4096                   // 00000000C978: D89A1000 0000700D
	ds_write_b64 v13, v[114:115] offset:6144                   // 00000000C980: D89A1800 0000720D
	ds_write_b64 v13, v[116:117] offset:8192                   // 00000000C988: D89A2000 0000740D
	ds_write_b64 v13, v[118:119] offset:10240                  // 00000000C990: D89A2800 0000760D
	buffer_load_dwordx4 a[212:215], v205, s[20:23], 0 offen    // 00000000C998: E05C1000 8085D4CD
	s_waitcnt lgkmcnt(0)                                       // 00000000C9A0: BF8CC07F
	s_barrier                                                  // 00000000C9A4: BF8A0000
	ds_read_b64 v[112:113], v12 offset:4096                    // 00000000C9A8: D8EC1000 7000000C
	ds_read_b64 v[114:115], v12 offset:4224                    // 00000000C9B0: D8EC1080 7200000C
	ds_read_b64 v[116:117], v12 offset:5120                    // 00000000C9B8: D8EC1400 7400000C
	ds_read_b64 v[118:119], v12 offset:5248                    // 00000000C9C0: D8EC1480 7600000C
	ds_read_b64 v[120:121], v12 offset:6144                    // 00000000C9C8: D8EC1800 7800000C
	ds_read_b64 v[122:123], v12 offset:6272                    // 00000000C9D0: D8EC1880 7A00000C
	ds_read_b64 v[124:125], v12 offset:7168                    // 00000000C9D8: D8EC1C00 7C00000C
	ds_read_b64 v[126:127], v12 offset:7296                    // 00000000C9E0: D8EC1C80 7E00000C
	ds_read_b64 v[128:129], v12 offset:8192                    // 00000000C9E8: D8EC2000 8000000C
	ds_read_b64 v[130:131], v12 offset:8320                    // 00000000C9F0: D8EC2080 8200000C
	ds_read_b64 v[132:133], v12 offset:9216                    // 00000000C9F8: D8EC2400 8400000C
	ds_read_b64 v[134:135], v12 offset:9344                    // 00000000CA00: D8EC2480 8600000C
	ds_read_b64 v[136:137], v12 offset:10240                   // 00000000CA08: D8EC2800 8800000C
	ds_read_b64 v[138:139], v12 offset:10368                   // 00000000CA10: D8EC2880 8A00000C
	ds_read_b64 v[140:141], v12 offset:11264                   // 00000000CA18: D8EC2C00 8C00000C
	ds_read_b64 v[142:143], v12 offset:11392                   // 00000000CA20: D8EC2C80 8E00000C
	buffer_load_dwordx4 a[216:219], v206, s[20:23], 0 offen    // 00000000CA28: E05C1000 8085D8CE
	buffer_load_dwordx4 a[220:223], v207, s[20:23], 0 offen    // 00000000CA30: E05C1000 8085DCCF
	s_waitcnt lgkmcnt(0)                                       // 00000000CA38: BF8CC07F
	s_nop 8                                                    // 00000000CA3C: BF800008
	v_mov_b32_e32 v50, v144                                    // 00000000CA40: 7E640390
	v_max3_f32 v50, v144, v145, v50                            // 00000000CA44: D1D30032 04CB2390
	v_max3_f32 v50, v146, v147, v50                            // 00000000CA4C: D1D30032 04CB2792
	v_max3_f32 v50, v148, v149, v50                            // 00000000CA54: D1D30032 04CB2B94
	v_max3_f32 v50, v150, v151, v50                            // 00000000CA5C: D1D30032 04CB2F96
	v_max3_f32 v50, v152, v153, v50                            // 00000000CA64: D1D30032 04CB3398
	v_max3_f32 v50, v154, v155, v50                            // 00000000CA6C: D1D30032 04CB379A
	v_max3_f32 v50, v156, v157, v50                            // 00000000CA74: D1D30032 04CB3B9C
	v_max3_f32 v50, v158, v159, v50                            // 00000000CA7C: D1D30032 04CB3F9E
	ds_write_b32 v11, v50                                      // 00000000CA84: D81A0000 0000320B
	s_waitcnt lgkmcnt(0)                                       // 00000000CA8C: BF8CC07F
	s_barrier                                                  // 00000000CA90: BF8A0000
	ds_read_b32 v64, v10                                       // 00000000CA94: D86C0000 4000000A
	ds_read_b32 v65, v10 offset:64                             // 00000000CA9C: D86C0040 4100000A
	ds_read_b32 v66, v10 offset:128                            // 00000000CAA4: D86C0080 4200000A
	ds_read_b32 v67, v10 offset:192                            // 00000000CAAC: D86C00C0 4300000A
	ds_read_b32 v68, v10 offset:256                            // 00000000CAB4: D86C0100 4400000A
	ds_read_b32 v69, v10 offset:320                            // 00000000CABC: D86C0140 4500000A
	ds_read_b32 v70, v10 offset:384                            // 00000000CAC4: D86C0180 4600000A
	ds_read_b32 v71, v10 offset:448                            // 00000000CACC: D86C01C0 4700000A
	ds_read_b32 v72, v10 offset:512                            // 00000000CAD4: D86C0200 4800000A
	ds_read_b32 v73, v10 offset:576                            // 00000000CADC: D86C0240 4900000A
	ds_read_b32 v74, v10 offset:640                            // 00000000CAE4: D86C0280 4A00000A
	ds_read_b32 v75, v10 offset:704                            // 00000000CAEC: D86C02C0 4B00000A
	ds_read_b32 v76, v10 offset:768                            // 00000000CAF4: D86C0300 4C00000A
	ds_read_b32 v77, v10 offset:832                            // 00000000CAFC: D86C0340 4D00000A
	ds_read_b32 v78, v10 offset:896                            // 00000000CB04: D86C0380 4E00000A
	ds_read_b32 v79, v10 offset:960                            // 00000000CB0C: D86C03C0 4F00000A
	s_waitcnt lgkmcnt(0)                                       // 00000000CB14: BF8CC07F
	v_max3_f32 v50, v64, v65, v50                              // 00000000CB18: D1D30032 04CA8340
	v_max3_f32 v50, v66, v67, v50                              // 00000000CB20: D1D30032 04CA8742
	v_max3_f32 v50, v68, v69, v50                              // 00000000CB28: D1D30032 04CA8B44
	v_max3_f32 v50, v70, v71, v50                              // 00000000CB30: D1D30032 04CA8F46
	v_max3_f32 v50, v72, v73, v50                              // 00000000CB38: D1D30032 04CA9348
	v_max3_f32 v50, v74, v75, v50                              // 00000000CB40: D1D30032 04CA974A
	v_max3_f32 v50, v76, v77, v50                              // 00000000CB48: D1D30032 04CA9B4C
	v_max3_f32 v50, v78, v79, v50                              // 00000000CB50: D1D30032 04CA9F4E
	v_cmp_eq_u32_e64 s[40:41], v55, v15                        // 00000000CB58: D0CA0028 00021F37
	s_nop 1                                                    // 00000000CB60: BF800001
	v_max_f32_e32 v16, v50, v15                                // 00000000CB64: 16201F32
	v_sub_f32_e32 v52, v15, v16                                // 00000000CB68: 0468210F
	v_cndmask_b32_e64 v52, v52, 0, s[40:41]                    // 00000000CB6C: D1000034 00A10134
	v_mov_b32_e32 v15, v16                                     // 00000000CB74: 7E1E0310
	v_mul_f32_e32 v53, s64, v16                                // 00000000CB78: 0A6A2040
	v_mul_f32_e32 v52, s64, v52                                // 00000000CB7C: 0A686840
	v_exp_f32_e32 v52, v52                                     // 00000000CB80: 7E684134
	v_fma_f32 v144, v144, s64, -v53                            // 00000000CB84: D1CB0090 84D48190
	v_fma_f32 v145, v145, s64, -v53                            // 00000000CB8C: D1CB0091 84D48191
	v_fma_f32 v146, v146, s64, -v53                            // 00000000CB94: D1CB0092 84D48192
	v_fma_f32 v147, v147, s64, -v53                            // 00000000CB9C: D1CB0093 84D48193
	v_fma_f32 v148, v148, s64, -v53                            // 00000000CBA4: D1CB0094 84D48194
	v_fma_f32 v149, v149, s64, -v53                            // 00000000CBAC: D1CB0095 84D48195
	v_fma_f32 v150, v150, s64, -v53                            // 00000000CBB4: D1CB0096 84D48196
	v_fma_f32 v151, v151, s64, -v53                            // 00000000CBBC: D1CB0097 84D48197
	v_fma_f32 v152, v152, s64, -v53                            // 00000000CBC4: D1CB0098 84D48198
	v_fma_f32 v153, v153, s64, -v53                            // 00000000CBCC: D1CB0099 84D48199
	v_fma_f32 v154, v154, s64, -v53                            // 00000000CBD4: D1CB009A 84D4819A
	v_fma_f32 v155, v155, s64, -v53                            // 00000000CBDC: D1CB009B 84D4819B
	v_fma_f32 v156, v156, s64, -v53                            // 00000000CBE4: D1CB009C 84D4819C
	v_fma_f32 v157, v157, s64, -v53                            // 00000000CBEC: D1CB009D 84D4819D
	v_fma_f32 v158, v158, s64, -v53                            // 00000000CBF4: D1CB009E 84D4819E
	v_fma_f32 v159, v159, s64, -v53                            // 00000000CBFC: D1CB009F 84D4819F
	v_exp_f32_e32 v144, v144                                   // 00000000CC04: 7F204190
	v_exp_f32_e32 v145, v145                                   // 00000000CC08: 7F224191
	v_exp_f32_e32 v146, v146                                   // 00000000CC0C: 7F244192
	v_exp_f32_e32 v147, v147                                   // 00000000CC10: 7F264193
	v_exp_f32_e32 v148, v148                                   // 00000000CC14: 7F284194
	v_exp_f32_e32 v149, v149                                   // 00000000CC18: 7F2A4195
	v_exp_f32_e32 v150, v150                                   // 00000000CC1C: 7F2C4196
	v_exp_f32_e32 v151, v151                                   // 00000000CC20: 7F2E4197
	v_exp_f32_e32 v152, v152                                   // 00000000CC24: 7F304198
	v_exp_f32_e32 v153, v153                                   // 00000000CC28: 7F324199
	v_exp_f32_e32 v154, v154                                   // 00000000CC2C: 7F34419A
	v_exp_f32_e32 v155, v155                                   // 00000000CC30: 7F36419B
	v_exp_f32_e32 v156, v156                                   // 00000000CC34: 7F38419C
	v_exp_f32_e32 v157, v157                                   // 00000000CC38: 7F3A419D
	v_exp_f32_e32 v158, v158                                   // 00000000CC3C: 7F3C419E
	v_exp_f32_e32 v159, v159                                   // 00000000CC40: 7F3E419F
	v_mul_f32_e32 v44, v52, v44                                // 00000000CC44: 0A585934
	v_mov_b32_e32 v45, v144                                    // 00000000CC48: 7E5A0390
	v_add_f32_e32 v45, v145, v45                               // 00000000CC4C: 025A5B91
	v_add_f32_e32 v45, v146, v45                               // 00000000CC50: 025A5B92
	v_add_f32_e32 v45, v147, v45                               // 00000000CC54: 025A5B93
	v_add_f32_e32 v45, v148, v45                               // 00000000CC58: 025A5B94
	v_add_f32_e32 v45, v149, v45                               // 00000000CC5C: 025A5B95
	v_add_f32_e32 v45, v150, v45                               // 00000000CC60: 025A5B96
	v_add_f32_e32 v45, v151, v45                               // 00000000CC64: 025A5B97
	v_add_f32_e32 v45, v152, v45                               // 00000000CC68: 025A5B98
	v_add_f32_e32 v45, v153, v45                               // 00000000CC6C: 025A5B99
	v_add_f32_e32 v45, v154, v45                               // 00000000CC70: 025A5B9A
	v_add_f32_e32 v45, v155, v45                               // 00000000CC74: 025A5B9B
	v_add_f32_e32 v45, v156, v45                               // 00000000CC78: 025A5B9C
	v_add_f32_e32 v45, v157, v45                               // 00000000CC7C: 025A5B9D
	v_add_f32_e32 v45, v158, v45                               // 00000000CC80: 025A5B9E
	v_add_f32_e32 v45, v159, v45                               // 00000000CC84: 025A5B9F
	v_add_f32_e32 v44, v45, v44                                // 00000000CC88: 0258592D
	v_cmp_u_f32_e64 s[40:41], v144, v144                       // 00000000CC8C: D0480028 00032190
	v_add3_u32 v19, v144, v22, 1                               // 00000000CC94: D1FF0013 02062D90
	v_cndmask_b32_e64 v39, v19, v21, s[40:41]                  // 00000000CC9C: D1000027 00A22B13
	v_cmp_u_f32_e64 s[40:41], v145, v145                       // 00000000CCA4: D0480028 00032391
	v_add3_u32 v19, v145, v22, 1                               // 00000000CCAC: D1FF0013 02062D91
	v_cndmask_b32_e64 v40, v19, v21, s[40:41]                  // 00000000CCB4: D1000028 00A22B13
	v_perm_b32 v144, v40, v39, s52                             // 00000000CCBC: D1ED0090 00D24F28
	v_cmp_u_f32_e64 s[40:41], v146, v146                       // 00000000CCC4: D0480028 00032592
	v_add3_u32 v19, v146, v22, 1                               // 00000000CCCC: D1FF0013 02062D92
	v_cndmask_b32_e64 v39, v19, v21, s[40:41]                  // 00000000CCD4: D1000027 00A22B13
	v_cmp_u_f32_e64 s[40:41], v147, v147                       // 00000000CCDC: D0480028 00032793
	v_add3_u32 v19, v147, v22, 1                               // 00000000CCE4: D1FF0013 02062D93
	v_cndmask_b32_e64 v40, v19, v21, s[40:41]                  // 00000000CCEC: D1000028 00A22B13
	v_perm_b32 v145, v40, v39, s52                             // 00000000CCF4: D1ED0091 00D24F28
	v_cmp_u_f32_e64 s[40:41], v148, v148                       // 00000000CCFC: D0480028 00032994
	v_add3_u32 v19, v148, v22, 1                               // 00000000CD04: D1FF0013 02062D94
	v_cndmask_b32_e64 v39, v19, v21, s[40:41]                  // 00000000CD0C: D1000027 00A22B13
	v_cmp_u_f32_e64 s[40:41], v149, v149                       // 00000000CD14: D0480028 00032B95
	v_add3_u32 v19, v149, v22, 1                               // 00000000CD1C: D1FF0013 02062D95
	v_cndmask_b32_e64 v40, v19, v21, s[40:41]                  // 00000000CD24: D1000028 00A22B13
	v_perm_b32 v146, v40, v39, s52                             // 00000000CD2C: D1ED0092 00D24F28
	v_cmp_u_f32_e64 s[40:41], v150, v150                       // 00000000CD34: D0480028 00032D96
	v_add3_u32 v19, v150, v22, 1                               // 00000000CD3C: D1FF0013 02062D96
	v_cndmask_b32_e64 v39, v19, v21, s[40:41]                  // 00000000CD44: D1000027 00A22B13
	v_cmp_u_f32_e64 s[40:41], v151, v151                       // 00000000CD4C: D0480028 00032F97
	v_add3_u32 v19, v151, v22, 1                               // 00000000CD54: D1FF0013 02062D97
	v_cndmask_b32_e64 v40, v19, v21, s[40:41]                  // 00000000CD5C: D1000028 00A22B13
	v_perm_b32 v147, v40, v39, s52                             // 00000000CD64: D1ED0093 00D24F28
	v_cmp_u_f32_e64 s[40:41], v152, v152                       // 00000000CD6C: D0480028 00033198
	v_add3_u32 v19, v152, v22, 1                               // 00000000CD74: D1FF0013 02062D98
	v_cndmask_b32_e64 v39, v19, v21, s[40:41]                  // 00000000CD7C: D1000027 00A22B13
	v_cmp_u_f32_e64 s[40:41], v153, v153                       // 00000000CD84: D0480028 00033399
	v_add3_u32 v19, v153, v22, 1                               // 00000000CD8C: D1FF0013 02062D99
	v_cndmask_b32_e64 v40, v19, v21, s[40:41]                  // 00000000CD94: D1000028 00A22B13
	v_perm_b32 v148, v40, v39, s52                             // 00000000CD9C: D1ED0094 00D24F28
	v_cmp_u_f32_e64 s[40:41], v154, v154                       // 00000000CDA4: D0480028 0003359A
	v_add3_u32 v19, v154, v22, 1                               // 00000000CDAC: D1FF0013 02062D9A
	v_cndmask_b32_e64 v39, v19, v21, s[40:41]                  // 00000000CDB4: D1000027 00A22B13
	v_cmp_u_f32_e64 s[40:41], v155, v155                       // 00000000CDBC: D0480028 0003379B
	v_add3_u32 v19, v155, v22, 1                               // 00000000CDC4: D1FF0013 02062D9B
	v_cndmask_b32_e64 v40, v19, v21, s[40:41]                  // 00000000CDCC: D1000028 00A22B13
	v_perm_b32 v149, v40, v39, s52                             // 00000000CDD4: D1ED0095 00D24F28
	v_cmp_u_f32_e64 s[40:41], v156, v156                       // 00000000CDDC: D0480028 0003399C
	v_add3_u32 v19, v156, v22, 1                               // 00000000CDE4: D1FF0013 02062D9C
	v_cndmask_b32_e64 v39, v19, v21, s[40:41]                  // 00000000CDEC: D1000027 00A22B13
	v_cmp_u_f32_e64 s[40:41], v157, v157                       // 00000000CDF4: D0480028 00033B9D
	v_add3_u32 v19, v157, v22, 1                               // 00000000CDFC: D1FF0013 02062D9D
	v_cndmask_b32_e64 v40, v19, v21, s[40:41]                  // 00000000CE04: D1000028 00A22B13
	v_perm_b32 v150, v40, v39, s52                             // 00000000CE0C: D1ED0096 00D24F28
	v_cmp_u_f32_e64 s[40:41], v158, v158                       // 00000000CE14: D0480028 00033D9E
	v_add3_u32 v19, v158, v22, 1                               // 00000000CE1C: D1FF0013 02062D9E
	v_cndmask_b32_e64 v39, v19, v21, s[40:41]                  // 00000000CE24: D1000027 00A22B13
	v_cmp_u_f32_e64 s[40:41], v159, v159                       // 00000000CE2C: D0480028 00033F9F
	v_add3_u32 v19, v159, v22, 1                               // 00000000CE34: D1FF0013 02062D9F
	v_cndmask_b32_e64 v40, v19, v21, s[40:41]                  // 00000000CE3C: D1000028 00A22B13
	v_perm_b32 v151, v40, v39, s52                             // 00000000CE44: D1ED0097 00D24F28
	ds_write_b64 v13, v[144:145] offset:4096                   // 00000000CE4C: D89A1000 0000900D
	ds_write_b64 v13, v[146:147] offset:6144                   // 00000000CE54: D89A1800 0000920D
	ds_write_b64 v13, v[148:149] offset:8192                   // 00000000CE5C: D89A2000 0000940D
	ds_write_b64 v13, v[150:151] offset:10240                  // 00000000CE64: D89A2800 0000960D
	s_waitcnt lgkmcnt(0)                                       // 00000000CE6C: BF8CC07F
	s_barrier                                                  // 00000000CE70: BF8A0000
	ds_read_b64 v[144:145], v12 offset:4096                    // 00000000CE74: D8EC1000 9000000C
	ds_read_b64 v[146:147], v12 offset:4224                    // 00000000CE7C: D8EC1080 9200000C
	ds_read_b64 v[148:149], v12 offset:5120                    // 00000000CE84: D8EC1400 9400000C
	ds_read_b64 v[150:151], v12 offset:5248                    // 00000000CE8C: D8EC1480 9600000C
	ds_read_b64 v[152:153], v12 offset:6144                    // 00000000CE94: D8EC1800 9800000C
	ds_read_b64 v[154:155], v12 offset:6272                    // 00000000CE9C: D8EC1880 9A00000C
	ds_read_b64 v[156:157], v12 offset:7168                    // 00000000CEA4: D8EC1C00 9C00000C
	ds_read_b64 v[158:159], v12 offset:7296                    // 00000000CEAC: D8EC1C80 9E00000C
	ds_read_b64 v[160:161], v12 offset:8192                    // 00000000CEB4: D8EC2000 A000000C
	ds_read_b64 v[162:163], v12 offset:8320                    // 00000000CEBC: D8EC2080 A200000C
	ds_read_b64 v[164:165], v12 offset:9216                    // 00000000CEC4: D8EC2400 A400000C
	ds_read_b64 v[166:167], v12 offset:9344                    // 00000000CECC: D8EC2480 A600000C
	ds_read_b64 v[168:169], v12 offset:10240                   // 00000000CED4: D8EC2800 A800000C
	ds_read_b64 v[170:171], v12 offset:10368                   // 00000000CEDC: D8EC2880 AA00000C
	ds_read_b64 v[172:173], v12 offset:11264                   // 00000000CEE4: D8EC2C00 AC00000C
	ds_read_b64 v[174:175], v12 offset:11392                   // 00000000CEEC: D8EC2C80 AE00000C
	s_waitcnt lgkmcnt(0)                                       // 00000000CEF4: BF8CC07F
	v_mul_f32_e32 v176, v51, v176                              // 00000000CEF8: 0B616133
	v_mul_f32_e32 v177, v51, v177                              // 00000000CEFC: 0B636333
	v_mul_f32_e32 v178, v51, v178                              // 00000000CF00: 0B656533
	v_mul_f32_e32 v179, v51, v179                              // 00000000CF04: 0B676733
	v_mul_f32_e32 v180, v51, v180                              // 00000000CF08: 0B696933
	v_mul_f32_e32 v181, v51, v181                              // 00000000CF0C: 0B6B6B33
	v_mul_f32_e32 v182, v51, v182                              // 00000000CF10: 0B6D6D33
	v_mul_f32_e32 v183, v51, v183                              // 00000000CF14: 0B6F6F33
	v_mul_f32_e32 v184, v52, v184                              // 00000000CF18: 0B717134
	v_mul_f32_e32 v185, v52, v185                              // 00000000CF1C: 0B737334
	v_mul_f32_e32 v186, v52, v186                              // 00000000CF20: 0B757534
	v_mul_f32_e32 v187, v52, v187                              // 00000000CF24: 0B777734
	v_mul_f32_e32 v188, v52, v188                              // 00000000CF28: 0B797934
	v_mul_f32_e32 v189, v52, v189                              // 00000000CF2C: 0B7B7B34
	v_mul_f32_e32 v190, v52, v190                              // 00000000CF30: 0B7D7D34
	v_mul_f32_e32 v191, v52, v191                              // 00000000CF34: 0B7F7F34
	s_waitcnt vmcnt(24)                                        // 00000000CF38: BF8C4F78
	v_mfma_f32_16x16x16_bf16 v[176:179], a[128:129], v[112:113], v[176:179]// 00000000CF3C: D3E100B0 0EC2E180
	buffer_load_dwordx4 a[224:227], v200, s[20:23], 0 offen offset:1024// 00000000CF44: E05C1400 8085E0C8
	v_mfma_f32_16x16x16_bf16 v[176:179], a[130:131], v[114:115], v[176:179]// 00000000CF4C: D3E100B0 0EC2E582
	v_mfma_f32_16x16x16_bf16 v[176:179], a[132:133], v[116:117], v[176:179]// 00000000CF54: D3E100B0 0EC2E984
	v_mfma_f32_16x16x16_bf16 v[176:179], a[134:135], v[118:119], v[176:179]// 00000000CF5C: D3E100B0 0EC2ED86
	v_mfma_f32_16x16x16_bf16 v[176:179], a[136:137], v[120:121], v[176:179]// 00000000CF64: D3E100B0 0EC2F188
	buffer_load_dwordx4 a[228:231], v201, s[20:23], 0 offen offset:1024// 00000000CF6C: E05C1400 8085E4C9
	v_mfma_f32_16x16x16_bf16 v[176:179], a[138:139], v[122:123], v[176:179]// 00000000CF74: D3E100B0 0EC2F58A
	v_mfma_f32_16x16x16_bf16 v[176:179], a[140:141], v[124:125], v[176:179]// 00000000CF7C: D3E100B0 0EC2F98C
	v_mfma_f32_16x16x16_bf16 v[176:179], a[142:143], v[126:127], v[176:179]// 00000000CF84: D3E100B0 0EC2FD8E
	v_mfma_f32_16x16x16_bf16 v[176:179], a[144:145], v[128:129], v[176:179]// 00000000CF8C: D3E100B0 0EC30190
	buffer_load_dwordx4 a[232:235], v202, s[20:23], 0 offen offset:1024// 00000000CF94: E05C1400 8085E8CA
	v_mfma_f32_16x16x16_bf16 v[176:179], a[146:147], v[130:131], v[176:179]// 00000000CF9C: D3E100B0 0EC30592
	v_mfma_f32_16x16x16_bf16 v[176:179], a[148:149], v[132:133], v[176:179]// 00000000CFA4: D3E100B0 0EC30994
	v_mfma_f32_16x16x16_bf16 v[176:179], a[150:151], v[134:135], v[176:179]// 00000000CFAC: D3E100B0 0EC30D96
	v_mfma_f32_16x16x16_bf16 v[176:179], a[152:153], v[136:137], v[176:179]// 00000000CFB4: D3E100B0 0EC31198
	buffer_load_dwordx4 a[236:239], v203, s[20:23], 0 offen offset:1024// 00000000CFBC: E05C1400 8085ECCB
	v_mfma_f32_16x16x16_bf16 v[176:179], a[154:155], v[138:139], v[176:179]// 00000000CFC4: D3E100B0 0EC3159A
	v_mfma_f32_16x16x16_bf16 v[176:179], a[156:157], v[140:141], v[176:179]// 00000000CFCC: D3E100B0 0EC3199C
	v_mfma_f32_16x16x16_bf16 v[176:179], a[158:159], v[142:143], v[176:179]// 00000000CFD4: D3E100B0 0EC31D9E
	v_mfma_f32_16x16x16_bf16 v[180:183], a[160:161], v[112:113], v[180:183]// 00000000CFDC: D3E100B4 0ED2E1A0
	buffer_load_dwordx4 a[240:243], v204, s[20:23], 0 offen offset:1024// 00000000CFE4: E05C1400 8085F0CC
	v_mfma_f32_16x16x16_bf16 v[180:183], a[162:163], v[114:115], v[180:183]// 00000000CFEC: D3E100B4 0ED2E5A2
	v_mfma_f32_16x16x16_bf16 v[180:183], a[164:165], v[116:117], v[180:183]// 00000000CFF4: D3E100B4 0ED2E9A4
	v_mfma_f32_16x16x16_bf16 v[180:183], a[166:167], v[118:119], v[180:183]// 00000000CFFC: D3E100B4 0ED2EDA6
	v_mfma_f32_16x16x16_bf16 v[180:183], a[168:169], v[120:121], v[180:183]// 00000000D004: D3E100B4 0ED2F1A8
	buffer_load_dwordx4 a[244:247], v205, s[20:23], 0 offen offset:1024// 00000000D00C: E05C1400 8085F4CD
	v_mfma_f32_16x16x16_bf16 v[180:183], a[170:171], v[122:123], v[180:183]// 00000000D014: D3E100B4 0ED2F5AA
	v_mfma_f32_16x16x16_bf16 v[180:183], a[172:173], v[124:125], v[180:183]// 00000000D01C: D3E100B4 0ED2F9AC
	v_mfma_f32_16x16x16_bf16 v[180:183], a[174:175], v[126:127], v[180:183]// 00000000D024: D3E100B4 0ED2FDAE
	v_mfma_f32_16x16x16_bf16 v[180:183], a[176:177], v[128:129], v[180:183]// 00000000D02C: D3E100B4 0ED301B0
	buffer_load_dwordx4 a[248:251], v206, s[20:23], 0 offen offset:1024// 00000000D034: E05C1400 8085F8CE
	v_mfma_f32_16x16x16_bf16 v[180:183], a[178:179], v[130:131], v[180:183]// 00000000D03C: D3E100B4 0ED305B2
	v_mfma_f32_16x16x16_bf16 v[180:183], a[180:181], v[132:133], v[180:183]// 00000000D044: D3E100B4 0ED309B4
	v_mfma_f32_16x16x16_bf16 v[180:183], a[182:183], v[134:135], v[180:183]// 00000000D04C: D3E100B4 0ED30DB6
	v_mfma_f32_16x16x16_bf16 v[180:183], a[184:185], v[136:137], v[180:183]// 00000000D054: D3E100B4 0ED311B8
	buffer_load_dwordx4 a[252:255], v207, s[20:23], 0 offen offset:1024// 00000000D05C: E05C1400 8085FCCF
	v_mfma_f32_16x16x16_bf16 v[180:183], a[186:187], v[138:139], v[180:183]// 00000000D064: D3E100B4 0ED315BA
	v_mfma_f32_16x16x16_bf16 v[180:183], a[188:189], v[140:141], v[180:183]// 00000000D06C: D3E100B4 0ED319BC
	v_mfma_f32_16x16x16_bf16 v[180:183], a[190:191], v[142:143], v[180:183]// 00000000D074: D3E100B4 0ED31DBE
	v_mfma_f32_16x16x16_bf16 v[184:187], a[128:129], v[144:145], v[184:187]// 00000000D07C: D3E100B8 0EE32180
	v_mfma_f32_16x16x16_bf16 v[184:187], a[130:131], v[146:147], v[184:187]// 00000000D084: D3E100B8 0EE32582
	v_mfma_f32_16x16x16_bf16 v[184:187], a[132:133], v[148:149], v[184:187]// 00000000D08C: D3E100B8 0EE32984
	v_mfma_f32_16x16x16_bf16 v[184:187], a[134:135], v[150:151], v[184:187]// 00000000D094: D3E100B8 0EE32D86
	v_mfma_f32_16x16x16_bf16 v[184:187], a[136:137], v[152:153], v[184:187]// 00000000D09C: D3E100B8 0EE33188
	v_mfma_f32_16x16x16_bf16 v[184:187], a[138:139], v[154:155], v[184:187]// 00000000D0A4: D3E100B8 0EE3358A
	v_mfma_f32_16x16x16_bf16 v[184:187], a[140:141], v[156:157], v[184:187]// 00000000D0AC: D3E100B8 0EE3398C
	v_mfma_f32_16x16x16_bf16 v[184:187], a[142:143], v[158:159], v[184:187]// 00000000D0B4: D3E100B8 0EE33D8E
	v_mfma_f32_16x16x16_bf16 v[184:187], a[144:145], v[160:161], v[184:187]// 00000000D0BC: D3E100B8 0EE34190
	v_mfma_f32_16x16x16_bf16 v[184:187], a[146:147], v[162:163], v[184:187]// 00000000D0C4: D3E100B8 0EE34592
	v_mfma_f32_16x16x16_bf16 v[184:187], a[148:149], v[164:165], v[184:187]// 00000000D0CC: D3E100B8 0EE34994
	v_mfma_f32_16x16x16_bf16 v[184:187], a[150:151], v[166:167], v[184:187]// 00000000D0D4: D3E100B8 0EE34D96
	v_mfma_f32_16x16x16_bf16 v[184:187], a[152:153], v[168:169], v[184:187]// 00000000D0DC: D3E100B8 0EE35198
	v_mfma_f32_16x16x16_bf16 v[184:187], a[154:155], v[170:171], v[184:187]// 00000000D0E4: D3E100B8 0EE3559A
	v_mfma_f32_16x16x16_bf16 v[184:187], a[156:157], v[172:173], v[184:187]// 00000000D0EC: D3E100B8 0EE3599C
	v_mfma_f32_16x16x16_bf16 v[184:187], a[158:159], v[174:175], v[184:187]// 00000000D0F4: D3E100B8 0EE35D9E
	v_mfma_f32_16x16x16_bf16 v[188:191], a[160:161], v[144:145], v[188:191]// 00000000D0FC: D3E100BC 0EF321A0
	v_mfma_f32_16x16x16_bf16 v[188:191], a[162:163], v[146:147], v[188:191]// 00000000D104: D3E100BC 0EF325A2
	v_mfma_f32_16x16x16_bf16 v[188:191], a[164:165], v[148:149], v[188:191]// 00000000D10C: D3E100BC 0EF329A4
	v_mfma_f32_16x16x16_bf16 v[188:191], a[166:167], v[150:151], v[188:191]// 00000000D114: D3E100BC 0EF32DA6
	v_mfma_f32_16x16x16_bf16 v[188:191], a[168:169], v[152:153], v[188:191]// 00000000D11C: D3E100BC 0EF331A8
	v_mfma_f32_16x16x16_bf16 v[188:191], a[170:171], v[154:155], v[188:191]// 00000000D124: D3E100BC 0EF335AA
	v_mfma_f32_16x16x16_bf16 v[188:191], a[172:173], v[156:157], v[188:191]// 00000000D12C: D3E100BC 0EF339AC
	v_mfma_f32_16x16x16_bf16 v[188:191], a[174:175], v[158:159], v[188:191]// 00000000D134: D3E100BC 0EF33DAE
	v_mfma_f32_16x16x16_bf16 v[188:191], a[176:177], v[160:161], v[188:191]// 00000000D13C: D3E100BC 0EF341B0
	v_mfma_f32_16x16x16_bf16 v[188:191], a[178:179], v[162:163], v[188:191]// 00000000D144: D3E100BC 0EF345B2
	v_mfma_f32_16x16x16_bf16 v[188:191], a[180:181], v[164:165], v[188:191]// 00000000D14C: D3E100BC 0EF349B4
	v_mfma_f32_16x16x16_bf16 v[188:191], a[182:183], v[166:167], v[188:191]// 00000000D154: D3E100BC 0EF34DB6
	v_mfma_f32_16x16x16_bf16 v[188:191], a[184:185], v[168:169], v[188:191]// 00000000D15C: D3E100BC 0EF351B8
	v_mfma_f32_16x16x16_bf16 v[188:191], a[186:187], v[170:171], v[188:191]// 00000000D164: D3E100BC 0EF355BA
	v_mfma_f32_16x16x16_bf16 v[188:191], a[188:189], v[172:173], v[188:191]// 00000000D16C: D3E100BC 0EF359BC
	v_mfma_f32_16x16x16_bf16 v[188:191], a[190:191], v[174:175], v[188:191]// 00000000D174: D3E100BC 0EF35DBE
	s_lshr_b32 s60, s70, 4                                     // 00000000D17C: 8F3C8446
	s_add_u32 s60, 48, s60                                     // 00000000D180: 803C3CB0
	s_cmp_ge_u32 s60, s73                                      // 00000000D184: BF09493C
	s_cselect_b32 s56, 0, s56                                  // 00000000D188: 85383880
	v_mul_u32_u24_dpp v39, v17, v54 row_newbcast:0 row_mask:0xf bank_mask:0xf// 00000000D18C: 104E6CFA FF015011
	v_mul_u32_u24_dpp v40, v17, v54 row_newbcast:4 row_mask:0xf bank_mask:0xf// 00000000D194: 10506CFA FF015411
	v_mul_u32_u24_dpp v41, v17, v54 row_newbcast:8 row_mask:0xf bank_mask:0xf// 00000000D19C: 10526CFA FF015811
	v_mul_u32_u24_dpp v42, v17, v54 row_newbcast:12 row_mask:0xf bank_mask:0xf// 00000000D1A4: 10546CFA FF015C11
	v_add_u32_e32 v23, v39, v6                                 // 00000000D1AC: 682E0D27
	v_add_u32_e32 v24, v40, v6                                 // 00000000D1B0: 68300D28
	v_add_u32_e32 v25, v41, v6                                 // 00000000D1B4: 68320D29
	v_add_u32_e32 v26, v42, v6                                 // 00000000D1B8: 68340D2A
	v_mul_u32_u24_dpp v39, v17, v54 row_newbcast:1 row_mask:0xf bank_mask:0xf// 00000000D1BC: 104E6CFA FF015111
	v_mul_u32_u24_dpp v40, v17, v54 row_newbcast:2 row_mask:0xf bank_mask:0xf// 00000000D1C4: 10506CFA FF015211
	v_mul_u32_u24_dpp v41, v17, v54 row_newbcast:5 row_mask:0xf bank_mask:0xf// 00000000D1CC: 10526CFA FF015511
	v_mul_u32_u24_dpp v42, v17, v54 row_newbcast:6 row_mask:0xf bank_mask:0xf// 00000000D1D4: 10546CFA FF015611
	v_add_u32_e32 v192, v39, v7                                // 00000000D1DC: 69800F27
	v_add_u32_e32 v193, v40, v7                                // 00000000D1E0: 69820F28
	v_add_u32_e32 v194, v41, v7                                // 00000000D1E4: 69840F29
	v_add_u32_e32 v195, v42, v7                                // 00000000D1E8: 69860F2A
	v_mul_u32_u24_dpp v39, v17, v54 row_newbcast:9 row_mask:0xf bank_mask:0xf// 00000000D1EC: 104E6CFA FF015911
	v_mul_u32_u24_dpp v40, v17, v54 row_newbcast:10 row_mask:0xf bank_mask:0xf// 00000000D1F4: 10506CFA FF015A11
	v_mul_u32_u24_dpp v41, v17, v54 row_newbcast:13 row_mask:0xf bank_mask:0xf// 00000000D1FC: 10526CFA FF015D11
	v_mul_u32_u24_dpp v42, v17, v54 row_newbcast:7 row_mask:0xf bank_mask:0xf// 00000000D204: 10546CFA FF015711
	v_add_u32_e32 v196, v39, v7                                // 00000000D20C: 69880F27
	v_add_u32_e32 v197, v40, v7                                // 00000000D210: 698A0F28
	v_add_u32_e32 v198, v41, v7                                // 00000000D214: 698C0F29
	v_add_u32_e32 v199, v42, v7                                // 00000000D218: 698E0F2A
	v_add_u32_e32 v1, s56, v1                                  // 00000000D21C: 68020238
	s_addk_i32 s70, 0x100                                      // 00000000D220: B7460100
	s_cmp_lt_i32 s70, s71                                      // 00000000D224: BF044746
	s_cbranch_scc0 label_282A                                  // 00000000D228: BF84FC1E
	s_waitcnt vmcnt(16) lgkmcnt(0)                             // 00000000D22C: BF8C4070
	v_mfma_f32_16x16x16_bf16 v[112:115], a[64:65], v[80:81], 0 // 00000000D230: D3E10070 0A02A140
	buffer_load_dwordx4 a[0:3], v23, s[16:19], 0 offen         // 00000000D238: E05C1000 80840017
	v_mfma_f32_16x16x16_bf16 v[112:115], a[66:67], v[82:83], v[112:115]// 00000000D240: D3E10070 0DC2A542
	v_mfma_f32_16x16x16_bf16 v[112:115], a[68:69], v[84:85], v[112:115]// 00000000D248: D3E10070 0DC2A944
	buffer_load_dword v18, v1, s[24:27], 0 offen               // 00000000D250: E0501000 80061201
	v_mfma_f32_16x16x16_bf16 v[112:115], a[70:71], v[86:87], v[112:115]// 00000000D258: D3E10070 0DC2AD46
	v_mfma_f32_16x16x16_bf16 v[112:115], a[72:73], v[88:89], v[112:115]// 00000000D260: D3E10070 0DC2B148
	buffer_load_dwordx4 a[4:7], v23, s[16:19], 0 offen offset:1024// 00000000D268: E05C1400 80840417
	v_mfma_f32_16x16x16_bf16 v[112:115], a[74:75], v[90:91], v[112:115]// 00000000D270: D3E10070 0DC2B54A
	v_mfma_f32_16x16x16_bf16 v[112:115], a[76:77], v[92:93], v[112:115]// 00000000D278: D3E10070 0DC2B94C
	v_mfma_f32_16x16x16_bf16 v[112:115], a[78:79], v[94:95], v[112:115]// 00000000D280: D3E10070 0DC2BD4E
	v_mfma_f32_16x16x16_bf16 v[116:119], a[80:81], v[80:81], 0 // 00000000D288: D3E10074 0A02A150
	buffer_load_dwordx4 a[8:11], v23, s[16:19], 0 offen offset:2048// 00000000D290: E05C1800 80840817
	v_mfma_f32_16x16x16_bf16 v[116:119], a[82:83], v[82:83], v[116:119]// 00000000D298: D3E10074 0DD2A552
	v_mfma_f32_16x16x16_bf16 v[116:119], a[84:85], v[84:85], v[116:119]// 00000000D2A0: D3E10074 0DD2A954
	v_mfma_f32_16x16x16_bf16 v[116:119], a[86:87], v[86:87], v[116:119]// 00000000D2A8: D3E10074 0DD2AD56
	v_mfma_f32_16x16x16_bf16 v[116:119], a[88:89], v[88:89], v[116:119]// 00000000D2B0: D3E10074 0DD2B158
	buffer_load_dwordx4 a[12:15], v23, s[16:19], 0 offen offset:3072// 00000000D2B8: E05C1C00 80840C17
	v_mfma_f32_16x16x16_bf16 v[116:119], a[90:91], v[90:91], v[116:119]// 00000000D2C0: D3E10074 0DD2B55A
	v_mfma_f32_16x16x16_bf16 v[116:119], a[92:93], v[92:93], v[116:119]// 00000000D2C8: D3E10074 0DD2B95C
	v_mfma_f32_16x16x16_bf16 v[116:119], a[94:95], v[94:95], v[116:119]// 00000000D2D0: D3E10074 0DD2BD5E
	v_mfma_f32_16x16x16_bf16 v[120:123], a[96:97], v[80:81], 0 // 00000000D2D8: D3E10078 0A02A160
	buffer_load_dwordx4 a[16:19], v24, s[16:19], 0 offen       // 00000000D2E0: E05C1000 80841018
	v_mfma_f32_16x16x16_bf16 v[120:123], a[98:99], v[82:83], v[120:123]// 00000000D2E8: D3E10078 0DE2A562
	v_mfma_f32_16x16x16_bf16 v[120:123], a[100:101], v[84:85], v[120:123]// 00000000D2F0: D3E10078 0DE2A964
	v_mfma_f32_16x16x16_bf16 v[120:123], a[102:103], v[86:87], v[120:123]// 00000000D2F8: D3E10078 0DE2AD66
	v_mfma_f32_16x16x16_bf16 v[120:123], a[104:105], v[88:89], v[120:123]// 00000000D300: D3E10078 0DE2B168
	buffer_load_dwordx4 a[20:23], v24, s[16:19], 0 offen offset:1024// 00000000D308: E05C1400 80841418
	v_mfma_f32_16x16x16_bf16 v[120:123], a[106:107], v[90:91], v[120:123]// 00000000D310: D3E10078 0DE2B56A
	v_mfma_f32_16x16x16_bf16 v[120:123], a[108:109], v[92:93], v[120:123]// 00000000D318: D3E10078 0DE2B96C
	v_mfma_f32_16x16x16_bf16 v[120:123], a[110:111], v[94:95], v[120:123]// 00000000D320: D3E10078 0DE2BD6E
	v_mfma_f32_16x16x16_bf16 v[124:127], a[112:113], v[80:81], 0// 00000000D328: D3E1007C 0A02A170
	buffer_load_dwordx4 a[24:27], v24, s[16:19], 0 offen offset:2048// 00000000D330: E05C1800 80841818
	v_mfma_f32_16x16x16_bf16 v[124:127], a[114:115], v[82:83], v[124:127]// 00000000D338: D3E1007C 0DF2A572
	v_mfma_f32_16x16x16_bf16 v[124:127], a[116:117], v[84:85], v[124:127]// 00000000D340: D3E1007C 0DF2A974
	v_mfma_f32_16x16x16_bf16 v[124:127], a[118:119], v[86:87], v[124:127]// 00000000D348: D3E1007C 0DF2AD76
	v_mfma_f32_16x16x16_bf16 v[124:127], a[120:121], v[88:89], v[124:127]// 00000000D350: D3E1007C 0DF2B178
	buffer_load_dwordx4 a[28:31], v24, s[16:19], 0 offen offset:3072// 00000000D358: E05C1C00 80841C18
	v_mfma_f32_16x16x16_bf16 v[124:127], a[122:123], v[90:91], v[124:127]// 00000000D360: D3E1007C 0DF2B57A
	v_mfma_f32_16x16x16_bf16 v[124:127], a[124:125], v[92:93], v[124:127]// 00000000D368: D3E1007C 0DF2B97C
	v_mfma_f32_16x16x16_bf16 v[124:127], a[126:127], v[94:95], v[124:127]// 00000000D370: D3E1007C 0DF2BD7E
	s_waitcnt vmcnt(16) lgkmcnt(0)                             // 00000000D378: BF8C4070
	v_mfma_f32_16x16x16_bf16 v[144:147], a[64:65], v[96:97], 0 // 00000000D37C: D3E10090 0A02C140
	v_mfma_f32_16x16x16_bf16 v[144:147], a[66:67], v[98:99], v[144:147]// 00000000D384: D3E10090 0E42C542
	v_mfma_f32_16x16x16_bf16 v[144:147], a[68:69], v[100:101], v[144:147]// 00000000D38C: D3E10090 0E42C944
	v_mfma_f32_16x16x16_bf16 v[144:147], a[70:71], v[102:103], v[144:147]// 00000000D394: D3E10090 0E42CD46
	v_mfma_f32_16x16x16_bf16 v[144:147], a[72:73], v[104:105], v[144:147]// 00000000D39C: D3E10090 0E42D148
	v_mfma_f32_16x16x16_bf16 v[144:147], a[74:75], v[106:107], v[144:147]// 00000000D3A4: D3E10090 0E42D54A
	v_mfma_f32_16x16x16_bf16 v[144:147], a[76:77], v[108:109], v[144:147]// 00000000D3AC: D3E10090 0E42D94C
	v_mfma_f32_16x16x16_bf16 v[144:147], a[78:79], v[110:111], v[144:147]// 00000000D3B4: D3E10090 0E42DD4E
	v_mfma_f32_16x16x16_bf16 v[148:151], a[80:81], v[96:97], 0 // 00000000D3BC: D3E10094 0A02C150
	v_mfma_f32_16x16x16_bf16 v[148:151], a[82:83], v[98:99], v[148:151]// 00000000D3C4: D3E10094 0E52C552
	v_mfma_f32_16x16x16_bf16 v[148:151], a[84:85], v[100:101], v[148:151]// 00000000D3CC: D3E10094 0E52C954
	v_mfma_f32_16x16x16_bf16 v[148:151], a[86:87], v[102:103], v[148:151]// 00000000D3D4: D3E10094 0E52CD56
	v_mfma_f32_16x16x16_bf16 v[148:151], a[88:89], v[104:105], v[148:151]// 00000000D3DC: D3E10094 0E52D158
	v_mfma_f32_16x16x16_bf16 v[148:151], a[90:91], v[106:107], v[148:151]// 00000000D3E4: D3E10094 0E52D55A
	v_mfma_f32_16x16x16_bf16 v[148:151], a[92:93], v[108:109], v[148:151]// 00000000D3EC: D3E10094 0E52D95C
	v_mfma_f32_16x16x16_bf16 v[148:151], a[94:95], v[110:111], v[148:151]// 00000000D3F4: D3E10094 0E52DD5E
	v_mfma_f32_16x16x16_bf16 v[152:155], a[96:97], v[96:97], 0 // 00000000D3FC: D3E10098 0A02C160
	v_mfma_f32_16x16x16_bf16 v[152:155], a[98:99], v[98:99], v[152:155]// 00000000D404: D3E10098 0E62C562
	v_mfma_f32_16x16x16_bf16 v[152:155], a[100:101], v[100:101], v[152:155]// 00000000D40C: D3E10098 0E62C964
	v_mfma_f32_16x16x16_bf16 v[152:155], a[102:103], v[102:103], v[152:155]// 00000000D414: D3E10098 0E62CD66
	v_mfma_f32_16x16x16_bf16 v[152:155], a[104:105], v[104:105], v[152:155]// 00000000D41C: D3E10098 0E62D168
	v_mfma_f32_16x16x16_bf16 v[152:155], a[106:107], v[106:107], v[152:155]// 00000000D424: D3E10098 0E62D56A
	v_mfma_f32_16x16x16_bf16 v[152:155], a[108:109], v[108:109], v[152:155]// 00000000D42C: D3E10098 0E62D96C
	v_mfma_f32_16x16x16_bf16 v[152:155], a[110:111], v[110:111], v[152:155]// 00000000D434: D3E10098 0E62DD6E
	v_mfma_f32_16x16x16_bf16 v[156:159], a[112:113], v[96:97], 0// 00000000D43C: D3E1009C 0A02C170
	v_mfma_f32_16x16x16_bf16 v[156:159], a[114:115], v[98:99], v[156:159]// 00000000D444: D3E1009C 0E72C572
	v_mfma_f32_16x16x16_bf16 v[156:159], a[116:117], v[100:101], v[156:159]// 00000000D44C: D3E1009C 0E72C974
	v_mfma_f32_16x16x16_bf16 v[156:159], a[118:119], v[102:103], v[156:159]// 00000000D454: D3E1009C 0E72CD76
	v_mfma_f32_16x16x16_bf16 v[156:159], a[120:121], v[104:105], v[156:159]// 00000000D45C: D3E1009C 0E72D178
	v_mfma_f32_16x16x16_bf16 v[156:159], a[122:123], v[106:107], v[156:159]// 00000000D464: D3E1009C 0E72D57A
	v_mfma_f32_16x16x16_bf16 v[156:159], a[124:125], v[108:109], v[156:159]// 00000000D46C: D3E1009C 0E72D97C
	v_mfma_f32_16x16x16_bf16 v[156:159], a[126:127], v[110:111], v[156:159]// 00000000D474: D3E1009C 0E72DD7E
	buffer_load_dwordx4 a[32:35], v25, s[16:19], 0 offen       // 00000000D47C: E05C1000 80842019
	s_nop 8                                                    // 00000000D484: BF800008
	buffer_load_dwordx4 a[36:39], v25, s[16:19], 0 offen offset:1024// 00000000D488: E05C1400 80842419
	v_mov_b32_e32 v50, v112                                    // 00000000D490: 7E640370
	v_max3_f32 v50, v112, v113, v50                            // 00000000D494: D1D30032 04CAE370
	v_max3_f32 v50, v114, v115, v50                            // 00000000D49C: D1D30032 04CAE772
	v_max3_f32 v50, v116, v117, v50                            // 00000000D4A4: D1D30032 04CAEB74
	v_max3_f32 v50, v118, v119, v50                            // 00000000D4AC: D1D30032 04CAEF76
	v_max3_f32 v50, v120, v121, v50                            // 00000000D4B4: D1D30032 04CAF378
	v_max3_f32 v50, v122, v123, v50                            // 00000000D4BC: D1D30032 04CAF77A
	v_max3_f32 v50, v124, v125, v50                            // 00000000D4C4: D1D30032 04CAFB7C
	v_max3_f32 v50, v126, v127, v50                            // 00000000D4CC: D1D30032 04CAFF7E
	ds_write_b32 v11, v50                                      // 00000000D4D4: D81A0000 0000320B
	buffer_load_dwordx4 a[40:43], v25, s[16:19], 0 offen offset:2048// 00000000D4DC: E05C1800 80842819
	s_waitcnt lgkmcnt(0)                                       // 00000000D4E4: BF8CC07F
	s_barrier                                                  // 00000000D4E8: BF8A0000
	ds_read_b32 v64, v10                                       // 00000000D4EC: D86C0000 4000000A
	buffer_load_dwordx4 a[44:47], v25, s[16:19], 0 offen offset:3072// 00000000D4F4: E05C1C00 80842C19
	ds_read_b32 v65, v10 offset:64                             // 00000000D4FC: D86C0040 4100000A
	ds_read_b32 v66, v10 offset:128                            // 00000000D504: D86C0080 4200000A
	ds_read_b32 v67, v10 offset:192                            // 00000000D50C: D86C00C0 4300000A
	ds_read_b32 v68, v10 offset:256                            // 00000000D514: D86C0100 4400000A
	ds_read_b32 v69, v10 offset:320                            // 00000000D51C: D86C0140 4500000A
	ds_read_b32 v70, v10 offset:384                            // 00000000D524: D86C0180 4600000A
	ds_read_b32 v71, v10 offset:448                            // 00000000D52C: D86C01C0 4700000A
	ds_read_b32 v72, v10 offset:512                            // 00000000D534: D86C0200 4800000A
	buffer_load_dwordx4 a[48:51], v26, s[16:19], 0 offen       // 00000000D53C: E05C1000 8084301A
	ds_read_b32 v73, v10 offset:576                            // 00000000D544: D86C0240 4900000A
	ds_read_b32 v74, v10 offset:640                            // 00000000D54C: D86C0280 4A00000A
	ds_read_b32 v75, v10 offset:704                            // 00000000D554: D86C02C0 4B00000A
	ds_read_b32 v76, v10 offset:768                            // 00000000D55C: D86C0300 4C00000A
	ds_read_b32 v77, v10 offset:832                            // 00000000D564: D86C0340 4D00000A
	ds_read_b32 v78, v10 offset:896                            // 00000000D56C: D86C0380 4E00000A
	ds_read_b32 v79, v10 offset:960                            // 00000000D574: D86C03C0 4F00000A
	buffer_load_dwordx4 a[52:55], v26, s[16:19], 0 offen offset:1024// 00000000D57C: E05C1400 8084341A
	buffer_load_dwordx4 a[56:59], v26, s[16:19], 0 offen offset:2048// 00000000D584: E05C1800 8084381A
	s_waitcnt lgkmcnt(0)                                       // 00000000D58C: BF8CC07F
	v_max3_f32 v50, v64, v65, v50                              // 00000000D590: D1D30032 04CA8340
	v_max3_f32 v50, v66, v67, v50                              // 00000000D598: D1D30032 04CA8742
	v_max3_f32 v50, v68, v69, v50                              // 00000000D5A0: D1D30032 04CA8B44
	v_max3_f32 v50, v70, v71, v50                              // 00000000D5A8: D1D30032 04CA8F46
	v_max3_f32 v50, v72, v73, v50                              // 00000000D5B0: D1D30032 04CA9348
	v_max3_f32 v50, v74, v75, v50                              // 00000000D5B8: D1D30032 04CA974A
	v_max3_f32 v50, v76, v77, v50                              // 00000000D5C0: D1D30032 04CA9B4C
	v_max3_f32 v50, v78, v79, v50                              // 00000000D5C8: D1D30032 04CA9F4E
	buffer_load_dwordx4 a[60:63], v26, s[16:19], 0 offen offset:3072// 00000000D5D0: E05C1C00 80843C1A
	v_cmp_eq_u32_e64 s[40:41], v55, v14                        // 00000000D5D8: D0CA0028 00021D37
	s_nop 1                                                    // 00000000D5E0: BF800001
	v_max_f32_e32 v16, v50, v14                                // 00000000D5E4: 16201D32
	v_sub_f32_e32 v51, v14, v16                                // 00000000D5E8: 0466210E
	v_cndmask_b32_e64 v51, v51, 0, s[40:41]                    // 00000000D5EC: D1000033 00A10133
	v_mov_b32_e32 v14, v16                                     // 00000000D5F4: 7E1C0310
	v_mul_f32_e32 v53, s64, v16                                // 00000000D5F8: 0A6A2040
	v_mul_f32_e32 v51, s64, v51                                // 00000000D5FC: 0A666640
	v_exp_f32_e32 v51, v51                                     // 00000000D600: 7E664133
	buffer_load_dwordx4 a[128:131], v192, s[20:23], 0 offen    // 00000000D604: E05C1000 808580C0
	v_fma_f32 v112, v112, s64, -v53                            // 00000000D60C: D1CB0070 84D48170
	v_fma_f32 v113, v113, s64, -v53                            // 00000000D614: D1CB0071 84D48171
	v_fma_f32 v114, v114, s64, -v53                            // 00000000D61C: D1CB0072 84D48172
	v_fma_f32 v115, v115, s64, -v53                            // 00000000D624: D1CB0073 84D48173
	v_fma_f32 v116, v116, s64, -v53                            // 00000000D62C: D1CB0074 84D48174
	v_fma_f32 v117, v117, s64, -v53                            // 00000000D634: D1CB0075 84D48175
	v_fma_f32 v118, v118, s64, -v53                            // 00000000D63C: D1CB0076 84D48176
	v_fma_f32 v119, v119, s64, -v53                            // 00000000D644: D1CB0077 84D48177
	v_fma_f32 v120, v120, s64, -v53                            // 00000000D64C: D1CB0078 84D48178
	v_fma_f32 v121, v121, s64, -v53                            // 00000000D654: D1CB0079 84D48179
	v_fma_f32 v122, v122, s64, -v53                            // 00000000D65C: D1CB007A 84D4817A
	v_fma_f32 v123, v123, s64, -v53                            // 00000000D664: D1CB007B 84D4817B
	v_fma_f32 v124, v124, s64, -v53                            // 00000000D66C: D1CB007C 84D4817C
	v_fma_f32 v125, v125, s64, -v53                            // 00000000D674: D1CB007D 84D4817D
	v_fma_f32 v126, v126, s64, -v53                            // 00000000D67C: D1CB007E 84D4817E
	v_fma_f32 v127, v127, s64, -v53                            // 00000000D684: D1CB007F 84D4817F
	v_exp_f32_e32 v112, v112                                   // 00000000D68C: 7EE04170
	v_exp_f32_e32 v113, v113                                   // 00000000D690: 7EE24171
	v_exp_f32_e32 v114, v114                                   // 00000000D694: 7EE44172
	v_exp_f32_e32 v115, v115                                   // 00000000D698: 7EE64173
	v_exp_f32_e32 v116, v116                                   // 00000000D69C: 7EE84174
	v_exp_f32_e32 v117, v117                                   // 00000000D6A0: 7EEA4175
	v_exp_f32_e32 v118, v118                                   // 00000000D6A4: 7EEC4176
	v_exp_f32_e32 v119, v119                                   // 00000000D6A8: 7EEE4177
	v_exp_f32_e32 v120, v120                                   // 00000000D6AC: 7EF04178
	v_exp_f32_e32 v121, v121                                   // 00000000D6B0: 7EF24179
	v_exp_f32_e32 v122, v122                                   // 00000000D6B4: 7EF4417A
	v_exp_f32_e32 v123, v123                                   // 00000000D6B8: 7EF6417B
	v_exp_f32_e32 v124, v124                                   // 00000000D6BC: 7EF8417C
	v_exp_f32_e32 v125, v125                                   // 00000000D6C0: 7EFA417D
	v_exp_f32_e32 v126, v126                                   // 00000000D6C4: 7EFC417E
	v_exp_f32_e32 v127, v127                                   // 00000000D6C8: 7EFE417F
	buffer_load_dwordx4 a[132:135], v193, s[20:23], 0 offen    // 00000000D6CC: E05C1000 808584C1
	v_mul_f32_e32 v43, v51, v43                                // 00000000D6D4: 0A565733
	v_mov_b32_e32 v45, v112                                    // 00000000D6D8: 7E5A0370
	v_add_f32_e32 v45, v113, v45                               // 00000000D6DC: 025A5B71
	v_add_f32_e32 v45, v114, v45                               // 00000000D6E0: 025A5B72
	v_add_f32_e32 v45, v115, v45                               // 00000000D6E4: 025A5B73
	v_add_f32_e32 v45, v116, v45                               // 00000000D6E8: 025A5B74
	v_add_f32_e32 v45, v117, v45                               // 00000000D6EC: 025A5B75
	v_add_f32_e32 v45, v118, v45                               // 00000000D6F0: 025A5B76
	v_add_f32_e32 v45, v119, v45                               // 00000000D6F4: 025A5B77
	v_add_f32_e32 v45, v120, v45                               // 00000000D6F8: 025A5B78
	v_add_f32_e32 v45, v121, v45                               // 00000000D6FC: 025A5B79
	v_add_f32_e32 v45, v122, v45                               // 00000000D700: 025A5B7A
	v_add_f32_e32 v45, v123, v45                               // 00000000D704: 025A5B7B
	v_add_f32_e32 v45, v124, v45                               // 00000000D708: 025A5B7C
	v_add_f32_e32 v45, v125, v45                               // 00000000D70C: 025A5B7D
	v_add_f32_e32 v45, v126, v45                               // 00000000D710: 025A5B7E
	v_add_f32_e32 v45, v127, v45                               // 00000000D714: 025A5B7F
	v_add_f32_e32 v43, v45, v43                                // 00000000D718: 0256572D
	buffer_load_dwordx4 a[136:139], v194, s[20:23], 0 offen    // 00000000D71C: E05C1000 808588C2
	v_cmp_u_f32_e64 s[40:41], v112, v112                       // 00000000D724: D0480028 0002E170
	v_add3_u32 v19, v112, v22, 1                               // 00000000D72C: D1FF0013 02062D70
	v_cndmask_b32_e64 v39, v19, v21, s[40:41]                  // 00000000D734: D1000027 00A22B13
	v_cmp_u_f32_e64 s[40:41], v113, v113                       // 00000000D73C: D0480028 0002E371
	v_add3_u32 v19, v113, v22, 1                               // 00000000D744: D1FF0013 02062D71
	v_cndmask_b32_e64 v40, v19, v21, s[40:41]                  // 00000000D74C: D1000028 00A22B13
	v_perm_b32 v112, v40, v39, s52                             // 00000000D754: D1ED0070 00D24F28
	v_cmp_u_f32_e64 s[40:41], v114, v114                       // 00000000D75C: D0480028 0002E572
	v_add3_u32 v19, v114, v22, 1                               // 00000000D764: D1FF0013 02062D72
	v_cndmask_b32_e64 v39, v19, v21, s[40:41]                  // 00000000D76C: D1000027 00A22B13
	v_cmp_u_f32_e64 s[40:41], v115, v115                       // 00000000D774: D0480028 0002E773
	v_add3_u32 v19, v115, v22, 1                               // 00000000D77C: D1FF0013 02062D73
	v_cndmask_b32_e64 v40, v19, v21, s[40:41]                  // 00000000D784: D1000028 00A22B13
	v_perm_b32 v113, v40, v39, s52                             // 00000000D78C: D1ED0071 00D24F28
	v_cmp_u_f32_e64 s[40:41], v116, v116                       // 00000000D794: D0480028 0002E974
	v_add3_u32 v19, v116, v22, 1                               // 00000000D79C: D1FF0013 02062D74
	v_cndmask_b32_e64 v39, v19, v21, s[40:41]                  // 00000000D7A4: D1000027 00A22B13
	v_cmp_u_f32_e64 s[40:41], v117, v117                       // 00000000D7AC: D0480028 0002EB75
	v_add3_u32 v19, v117, v22, 1                               // 00000000D7B4: D1FF0013 02062D75
	v_cndmask_b32_e64 v40, v19, v21, s[40:41]                  // 00000000D7BC: D1000028 00A22B13
	v_perm_b32 v114, v40, v39, s52                             // 00000000D7C4: D1ED0072 00D24F28
	v_cmp_u_f32_e64 s[40:41], v118, v118                       // 00000000D7CC: D0480028 0002ED76
	v_add3_u32 v19, v118, v22, 1                               // 00000000D7D4: D1FF0013 02062D76
	v_cndmask_b32_e64 v39, v19, v21, s[40:41]                  // 00000000D7DC: D1000027 00A22B13
	v_cmp_u_f32_e64 s[40:41], v119, v119                       // 00000000D7E4: D0480028 0002EF77
	v_add3_u32 v19, v119, v22, 1                               // 00000000D7EC: D1FF0013 02062D77
	v_cndmask_b32_e64 v40, v19, v21, s[40:41]                  // 00000000D7F4: D1000028 00A22B13
	v_perm_b32 v115, v40, v39, s52                             // 00000000D7FC: D1ED0073 00D24F28
	v_cmp_u_f32_e64 s[40:41], v120, v120                       // 00000000D804: D0480028 0002F178
	v_add3_u32 v19, v120, v22, 1                               // 00000000D80C: D1FF0013 02062D78
	v_cndmask_b32_e64 v39, v19, v21, s[40:41]                  // 00000000D814: D1000027 00A22B13
	v_cmp_u_f32_e64 s[40:41], v121, v121                       // 00000000D81C: D0480028 0002F379
	v_add3_u32 v19, v121, v22, 1                               // 00000000D824: D1FF0013 02062D79
	v_cndmask_b32_e64 v40, v19, v21, s[40:41]                  // 00000000D82C: D1000028 00A22B13
	v_perm_b32 v116, v40, v39, s52                             // 00000000D834: D1ED0074 00D24F28
	v_cmp_u_f32_e64 s[40:41], v122, v122                       // 00000000D83C: D0480028 0002F57A
	v_add3_u32 v19, v122, v22, 1                               // 00000000D844: D1FF0013 02062D7A
	v_cndmask_b32_e64 v39, v19, v21, s[40:41]                  // 00000000D84C: D1000027 00A22B13
	v_cmp_u_f32_e64 s[40:41], v123, v123                       // 00000000D854: D0480028 0002F77B
	v_add3_u32 v19, v123, v22, 1                               // 00000000D85C: D1FF0013 02062D7B
	v_cndmask_b32_e64 v40, v19, v21, s[40:41]                  // 00000000D864: D1000028 00A22B13
	v_perm_b32 v117, v40, v39, s52                             // 00000000D86C: D1ED0075 00D24F28
	v_cmp_u_f32_e64 s[40:41], v124, v124                       // 00000000D874: D0480028 0002F97C
	v_add3_u32 v19, v124, v22, 1                               // 00000000D87C: D1FF0013 02062D7C
	v_cndmask_b32_e64 v39, v19, v21, s[40:41]                  // 00000000D884: D1000027 00A22B13
	v_cmp_u_f32_e64 s[40:41], v125, v125                       // 00000000D88C: D0480028 0002FB7D
	v_add3_u32 v19, v125, v22, 1                               // 00000000D894: D1FF0013 02062D7D
	v_cndmask_b32_e64 v40, v19, v21, s[40:41]                  // 00000000D89C: D1000028 00A22B13
	v_perm_b32 v118, v40, v39, s52                             // 00000000D8A4: D1ED0076 00D24F28
	v_cmp_u_f32_e64 s[40:41], v126, v126                       // 00000000D8AC: D0480028 0002FD7E
	v_add3_u32 v19, v126, v22, 1                               // 00000000D8B4: D1FF0013 02062D7E
	v_cndmask_b32_e64 v39, v19, v21, s[40:41]                  // 00000000D8BC: D1000027 00A22B13
	v_cmp_u_f32_e64 s[40:41], v127, v127                       // 00000000D8C4: D0480028 0002FF7F
	v_add3_u32 v19, v127, v22, 1                               // 00000000D8CC: D1FF0013 02062D7F
	v_cndmask_b32_e64 v40, v19, v21, s[40:41]                  // 00000000D8D4: D1000028 00A22B13
	v_perm_b32 v119, v40, v39, s52                             // 00000000D8DC: D1ED0077 00D24F28
	buffer_load_dwordx4 a[140:143], v195, s[20:23], 0 offen    // 00000000D8E4: E05C1000 80858CC3
	buffer_load_dwordx4 a[144:147], v196, s[20:23], 0 offen    // 00000000D8EC: E05C1000 808590C4
	ds_write_b64 v13, v[112:113] offset:4096                   // 00000000D8F4: D89A1000 0000700D
	ds_write_b64 v13, v[114:115] offset:6144                   // 00000000D8FC: D89A1800 0000720D
	ds_write_b64 v13, v[116:117] offset:8192                   // 00000000D904: D89A2000 0000740D
	ds_write_b64 v13, v[118:119] offset:10240                  // 00000000D90C: D89A2800 0000760D
	buffer_load_dwordx4 a[148:151], v197, s[20:23], 0 offen    // 00000000D914: E05C1000 808594C5
	s_waitcnt lgkmcnt(0)                                       // 00000000D91C: BF8CC07F
	s_barrier                                                  // 00000000D920: BF8A0000
	ds_read_b64 v[112:113], v12 offset:4096                    // 00000000D924: D8EC1000 7000000C
	ds_read_b64 v[114:115], v12 offset:4224                    // 00000000D92C: D8EC1080 7200000C
	ds_read_b64 v[116:117], v12 offset:5120                    // 00000000D934: D8EC1400 7400000C
	ds_read_b64 v[118:119], v12 offset:5248                    // 00000000D93C: D8EC1480 7600000C
	ds_read_b64 v[120:121], v12 offset:6144                    // 00000000D944: D8EC1800 7800000C
	ds_read_b64 v[122:123], v12 offset:6272                    // 00000000D94C: D8EC1880 7A00000C
	ds_read_b64 v[124:125], v12 offset:7168                    // 00000000D954: D8EC1C00 7C00000C
	ds_read_b64 v[126:127], v12 offset:7296                    // 00000000D95C: D8EC1C80 7E00000C
	ds_read_b64 v[128:129], v12 offset:8192                    // 00000000D964: D8EC2000 8000000C
	ds_read_b64 v[130:131], v12 offset:8320                    // 00000000D96C: D8EC2080 8200000C
	ds_read_b64 v[132:133], v12 offset:9216                    // 00000000D974: D8EC2400 8400000C
	ds_read_b64 v[134:135], v12 offset:9344                    // 00000000D97C: D8EC2480 8600000C
	ds_read_b64 v[136:137], v12 offset:10240                   // 00000000D984: D8EC2800 8800000C
	ds_read_b64 v[138:139], v12 offset:10368                   // 00000000D98C: D8EC2880 8A00000C
	ds_read_b64 v[140:141], v12 offset:11264                   // 00000000D994: D8EC2C00 8C00000C
	ds_read_b64 v[142:143], v12 offset:11392                   // 00000000D99C: D8EC2C80 8E00000C
	buffer_load_dwordx4 a[152:155], v198, s[20:23], 0 offen    // 00000000D9A4: E05C1000 808598C6
	buffer_load_dwordx4 a[156:159], v199, s[20:23], 0 offen    // 00000000D9AC: E05C1000 80859CC7
	s_waitcnt lgkmcnt(0)                                       // 00000000D9B4: BF8CC07F
	s_nop 8                                                    // 00000000D9B8: BF800008
	v_mov_b32_e32 v50, v144                                    // 00000000D9BC: 7E640390
	v_max3_f32 v50, v144, v145, v50                            // 00000000D9C0: D1D30032 04CB2390
	v_max3_f32 v50, v146, v147, v50                            // 00000000D9C8: D1D30032 04CB2792
	v_max3_f32 v50, v148, v149, v50                            // 00000000D9D0: D1D30032 04CB2B94
	v_max3_f32 v50, v150, v151, v50                            // 00000000D9D8: D1D30032 04CB2F96
	v_max3_f32 v50, v152, v153, v50                            // 00000000D9E0: D1D30032 04CB3398
	v_max3_f32 v50, v154, v155, v50                            // 00000000D9E8: D1D30032 04CB379A
	v_max3_f32 v50, v156, v157, v50                            // 00000000D9F0: D1D30032 04CB3B9C
	v_max3_f32 v50, v158, v159, v50                            // 00000000D9F8: D1D30032 04CB3F9E
	ds_write_b32 v11, v50                                      // 00000000DA00: D81A0000 0000320B
	s_waitcnt lgkmcnt(0)                                       // 00000000DA08: BF8CC07F
	s_barrier                                                  // 00000000DA0C: BF8A0000
	ds_read_b32 v64, v10                                       // 00000000DA10: D86C0000 4000000A
	ds_read_b32 v65, v10 offset:64                             // 00000000DA18: D86C0040 4100000A
	ds_read_b32 v66, v10 offset:128                            // 00000000DA20: D86C0080 4200000A
	ds_read_b32 v67, v10 offset:192                            // 00000000DA28: D86C00C0 4300000A
	ds_read_b32 v68, v10 offset:256                            // 00000000DA30: D86C0100 4400000A
	ds_read_b32 v69, v10 offset:320                            // 00000000DA38: D86C0140 4500000A
	ds_read_b32 v70, v10 offset:384                            // 00000000DA40: D86C0180 4600000A
	ds_read_b32 v71, v10 offset:448                            // 00000000DA48: D86C01C0 4700000A
	ds_read_b32 v72, v10 offset:512                            // 00000000DA50: D86C0200 4800000A
	ds_read_b32 v73, v10 offset:576                            // 00000000DA58: D86C0240 4900000A
	ds_read_b32 v74, v10 offset:640                            // 00000000DA60: D86C0280 4A00000A
	ds_read_b32 v75, v10 offset:704                            // 00000000DA68: D86C02C0 4B00000A
	ds_read_b32 v76, v10 offset:768                            // 00000000DA70: D86C0300 4C00000A
	ds_read_b32 v77, v10 offset:832                            // 00000000DA78: D86C0340 4D00000A
	ds_read_b32 v78, v10 offset:896                            // 00000000DA80: D86C0380 4E00000A
	ds_read_b32 v79, v10 offset:960                            // 00000000DA88: D86C03C0 4F00000A
	s_waitcnt lgkmcnt(0)                                       // 00000000DA90: BF8CC07F
	v_max3_f32 v50, v64, v65, v50                              // 00000000DA94: D1D30032 04CA8340
	v_max3_f32 v50, v66, v67, v50                              // 00000000DA9C: D1D30032 04CA8742
	v_max3_f32 v50, v68, v69, v50                              // 00000000DAA4: D1D30032 04CA8B44
	v_max3_f32 v50, v70, v71, v50                              // 00000000DAAC: D1D30032 04CA8F46
	v_max3_f32 v50, v72, v73, v50                              // 00000000DAB4: D1D30032 04CA9348
	v_max3_f32 v50, v74, v75, v50                              // 00000000DABC: D1D30032 04CA974A
	v_max3_f32 v50, v76, v77, v50                              // 00000000DAC4: D1D30032 04CA9B4C
	v_max3_f32 v50, v78, v79, v50                              // 00000000DACC: D1D30032 04CA9F4E
	v_cmp_eq_u32_e64 s[40:41], v55, v15                        // 00000000DAD4: D0CA0028 00021F37
	s_nop 1                                                    // 00000000DADC: BF800001
	v_max_f32_e32 v16, v50, v15                                // 00000000DAE0: 16201F32
	v_sub_f32_e32 v52, v15, v16                                // 00000000DAE4: 0468210F
	v_cndmask_b32_e64 v52, v52, 0, s[40:41]                    // 00000000DAE8: D1000034 00A10134
	v_mov_b32_e32 v15, v16                                     // 00000000DAF0: 7E1E0310
	v_mul_f32_e32 v53, s64, v16                                // 00000000DAF4: 0A6A2040
	v_mul_f32_e32 v52, s64, v52                                // 00000000DAF8: 0A686840
	v_exp_f32_e32 v52, v52                                     // 00000000DAFC: 7E684134
	v_fma_f32 v144, v144, s64, -v53                            // 00000000DB00: D1CB0090 84D48190
	v_fma_f32 v145, v145, s64, -v53                            // 00000000DB08: D1CB0091 84D48191
	v_fma_f32 v146, v146, s64, -v53                            // 00000000DB10: D1CB0092 84D48192
	v_fma_f32 v147, v147, s64, -v53                            // 00000000DB18: D1CB0093 84D48193
	v_fma_f32 v148, v148, s64, -v53                            // 00000000DB20: D1CB0094 84D48194
	v_fma_f32 v149, v149, s64, -v53                            // 00000000DB28: D1CB0095 84D48195
	v_fma_f32 v150, v150, s64, -v53                            // 00000000DB30: D1CB0096 84D48196
	v_fma_f32 v151, v151, s64, -v53                            // 00000000DB38: D1CB0097 84D48197
	v_fma_f32 v152, v152, s64, -v53                            // 00000000DB40: D1CB0098 84D48198
	v_fma_f32 v153, v153, s64, -v53                            // 00000000DB48: D1CB0099 84D48199
	v_fma_f32 v154, v154, s64, -v53                            // 00000000DB50: D1CB009A 84D4819A
	v_fma_f32 v155, v155, s64, -v53                            // 00000000DB58: D1CB009B 84D4819B
	v_fma_f32 v156, v156, s64, -v53                            // 00000000DB60: D1CB009C 84D4819C
	v_fma_f32 v157, v157, s64, -v53                            // 00000000DB68: D1CB009D 84D4819D
	v_fma_f32 v158, v158, s64, -v53                            // 00000000DB70: D1CB009E 84D4819E
	v_fma_f32 v159, v159, s64, -v53                            // 00000000DB78: D1CB009F 84D4819F
	v_exp_f32_e32 v144, v144                                   // 00000000DB80: 7F204190
	v_exp_f32_e32 v145, v145                                   // 00000000DB84: 7F224191
	v_exp_f32_e32 v146, v146                                   // 00000000DB88: 7F244192
	v_exp_f32_e32 v147, v147                                   // 00000000DB8C: 7F264193
	v_exp_f32_e32 v148, v148                                   // 00000000DB90: 7F284194
	v_exp_f32_e32 v149, v149                                   // 00000000DB94: 7F2A4195
	v_exp_f32_e32 v150, v150                                   // 00000000DB98: 7F2C4196
	v_exp_f32_e32 v151, v151                                   // 00000000DB9C: 7F2E4197
	v_exp_f32_e32 v152, v152                                   // 00000000DBA0: 7F304198
	v_exp_f32_e32 v153, v153                                   // 00000000DBA4: 7F324199
	v_exp_f32_e32 v154, v154                                   // 00000000DBA8: 7F34419A
	v_exp_f32_e32 v155, v155                                   // 00000000DBAC: 7F36419B
	v_exp_f32_e32 v156, v156                                   // 00000000DBB0: 7F38419C
	v_exp_f32_e32 v157, v157                                   // 00000000DBB4: 7F3A419D
	v_exp_f32_e32 v158, v158                                   // 00000000DBB8: 7F3C419E
	v_exp_f32_e32 v159, v159                                   // 00000000DBBC: 7F3E419F
	v_mul_f32_e32 v44, v52, v44                                // 00000000DBC0: 0A585934
	v_mov_b32_e32 v45, v144                                    // 00000000DBC4: 7E5A0390
	v_add_f32_e32 v45, v145, v45                               // 00000000DBC8: 025A5B91
	v_add_f32_e32 v45, v146, v45                               // 00000000DBCC: 025A5B92
	v_add_f32_e32 v45, v147, v45                               // 00000000DBD0: 025A5B93
	v_add_f32_e32 v45, v148, v45                               // 00000000DBD4: 025A5B94
	v_add_f32_e32 v45, v149, v45                               // 00000000DBD8: 025A5B95
	v_add_f32_e32 v45, v150, v45                               // 00000000DBDC: 025A5B96
	v_add_f32_e32 v45, v151, v45                               // 00000000DBE0: 025A5B97
	v_add_f32_e32 v45, v152, v45                               // 00000000DBE4: 025A5B98
	v_add_f32_e32 v45, v153, v45                               // 00000000DBE8: 025A5B99
	v_add_f32_e32 v45, v154, v45                               // 00000000DBEC: 025A5B9A
	v_add_f32_e32 v45, v155, v45                               // 00000000DBF0: 025A5B9B
	v_add_f32_e32 v45, v156, v45                               // 00000000DBF4: 025A5B9C
	v_add_f32_e32 v45, v157, v45                               // 00000000DBF8: 025A5B9D
	v_add_f32_e32 v45, v158, v45                               // 00000000DBFC: 025A5B9E
	v_add_f32_e32 v45, v159, v45                               // 00000000DC00: 025A5B9F
	v_add_f32_e32 v44, v45, v44                                // 00000000DC04: 0258592D
	v_cmp_u_f32_e64 s[40:41], v144, v144                       // 00000000DC08: D0480028 00032190
	v_add3_u32 v19, v144, v22, 1                               // 00000000DC10: D1FF0013 02062D90
	v_cndmask_b32_e64 v39, v19, v21, s[40:41]                  // 00000000DC18: D1000027 00A22B13
	v_cmp_u_f32_e64 s[40:41], v145, v145                       // 00000000DC20: D0480028 00032391
	v_add3_u32 v19, v145, v22, 1                               // 00000000DC28: D1FF0013 02062D91
	v_cndmask_b32_e64 v40, v19, v21, s[40:41]                  // 00000000DC30: D1000028 00A22B13
	v_perm_b32 v144, v40, v39, s52                             // 00000000DC38: D1ED0090 00D24F28
	v_cmp_u_f32_e64 s[40:41], v146, v146                       // 00000000DC40: D0480028 00032592
	v_add3_u32 v19, v146, v22, 1                               // 00000000DC48: D1FF0013 02062D92
	v_cndmask_b32_e64 v39, v19, v21, s[40:41]                  // 00000000DC50: D1000027 00A22B13
	v_cmp_u_f32_e64 s[40:41], v147, v147                       // 00000000DC58: D0480028 00032793
	v_add3_u32 v19, v147, v22, 1                               // 00000000DC60: D1FF0013 02062D93
	v_cndmask_b32_e64 v40, v19, v21, s[40:41]                  // 00000000DC68: D1000028 00A22B13
	v_perm_b32 v145, v40, v39, s52                             // 00000000DC70: D1ED0091 00D24F28
	v_cmp_u_f32_e64 s[40:41], v148, v148                       // 00000000DC78: D0480028 00032994
	v_add3_u32 v19, v148, v22, 1                               // 00000000DC80: D1FF0013 02062D94
	v_cndmask_b32_e64 v39, v19, v21, s[40:41]                  // 00000000DC88: D1000027 00A22B13
	v_cmp_u_f32_e64 s[40:41], v149, v149                       // 00000000DC90: D0480028 00032B95
	v_add3_u32 v19, v149, v22, 1                               // 00000000DC98: D1FF0013 02062D95
	v_cndmask_b32_e64 v40, v19, v21, s[40:41]                  // 00000000DCA0: D1000028 00A22B13
	v_perm_b32 v146, v40, v39, s52                             // 00000000DCA8: D1ED0092 00D24F28
	v_cmp_u_f32_e64 s[40:41], v150, v150                       // 00000000DCB0: D0480028 00032D96
	v_add3_u32 v19, v150, v22, 1                               // 00000000DCB8: D1FF0013 02062D96
	v_cndmask_b32_e64 v39, v19, v21, s[40:41]                  // 00000000DCC0: D1000027 00A22B13
	v_cmp_u_f32_e64 s[40:41], v151, v151                       // 00000000DCC8: D0480028 00032F97
	v_add3_u32 v19, v151, v22, 1                               // 00000000DCD0: D1FF0013 02062D97
	v_cndmask_b32_e64 v40, v19, v21, s[40:41]                  // 00000000DCD8: D1000028 00A22B13
	v_perm_b32 v147, v40, v39, s52                             // 00000000DCE0: D1ED0093 00D24F28
	v_cmp_u_f32_e64 s[40:41], v152, v152                       // 00000000DCE8: D0480028 00033198
	v_add3_u32 v19, v152, v22, 1                               // 00000000DCF0: D1FF0013 02062D98
	v_cndmask_b32_e64 v39, v19, v21, s[40:41]                  // 00000000DCF8: D1000027 00A22B13
	v_cmp_u_f32_e64 s[40:41], v153, v153                       // 00000000DD00: D0480028 00033399
	v_add3_u32 v19, v153, v22, 1                               // 00000000DD08: D1FF0013 02062D99
	v_cndmask_b32_e64 v40, v19, v21, s[40:41]                  // 00000000DD10: D1000028 00A22B13
	v_perm_b32 v148, v40, v39, s52                             // 00000000DD18: D1ED0094 00D24F28
	v_cmp_u_f32_e64 s[40:41], v154, v154                       // 00000000DD20: D0480028 0003359A
	v_add3_u32 v19, v154, v22, 1                               // 00000000DD28: D1FF0013 02062D9A
	v_cndmask_b32_e64 v39, v19, v21, s[40:41]                  // 00000000DD30: D1000027 00A22B13
	v_cmp_u_f32_e64 s[40:41], v155, v155                       // 00000000DD38: D0480028 0003379B
	v_add3_u32 v19, v155, v22, 1                               // 00000000DD40: D1FF0013 02062D9B
	v_cndmask_b32_e64 v40, v19, v21, s[40:41]                  // 00000000DD48: D1000028 00A22B13
	v_perm_b32 v149, v40, v39, s52                             // 00000000DD50: D1ED0095 00D24F28
	v_cmp_u_f32_e64 s[40:41], v156, v156                       // 00000000DD58: D0480028 0003399C
	v_add3_u32 v19, v156, v22, 1                               // 00000000DD60: D1FF0013 02062D9C
	v_cndmask_b32_e64 v39, v19, v21, s[40:41]                  // 00000000DD68: D1000027 00A22B13
	v_cmp_u_f32_e64 s[40:41], v157, v157                       // 00000000DD70: D0480028 00033B9D
	v_add3_u32 v19, v157, v22, 1                               // 00000000DD78: D1FF0013 02062D9D
	v_cndmask_b32_e64 v40, v19, v21, s[40:41]                  // 00000000DD80: D1000028 00A22B13
	v_perm_b32 v150, v40, v39, s52                             // 00000000DD88: D1ED0096 00D24F28
	v_cmp_u_f32_e64 s[40:41], v158, v158                       // 00000000DD90: D0480028 00033D9E
	v_add3_u32 v19, v158, v22, 1                               // 00000000DD98: D1FF0013 02062D9E
	v_cndmask_b32_e64 v39, v19, v21, s[40:41]                  // 00000000DDA0: D1000027 00A22B13
	v_cmp_u_f32_e64 s[40:41], v159, v159                       // 00000000DDA8: D0480028 00033F9F
	v_add3_u32 v19, v159, v22, 1                               // 00000000DDB0: D1FF0013 02062D9F
	v_cndmask_b32_e64 v40, v19, v21, s[40:41]                  // 00000000DDB8: D1000028 00A22B13
	v_perm_b32 v151, v40, v39, s52                             // 00000000DDC0: D1ED0097 00D24F28
	ds_write_b64 v13, v[144:145] offset:4096                   // 00000000DDC8: D89A1000 0000900D
	ds_write_b64 v13, v[146:147] offset:6144                   // 00000000DDD0: D89A1800 0000920D
	ds_write_b64 v13, v[148:149] offset:8192                   // 00000000DDD8: D89A2000 0000940D
	ds_write_b64 v13, v[150:151] offset:10240                  // 00000000DDE0: D89A2800 0000960D
	s_waitcnt lgkmcnt(0)                                       // 00000000DDE8: BF8CC07F
	s_barrier                                                  // 00000000DDEC: BF8A0000
	ds_read_b64 v[144:145], v12 offset:4096                    // 00000000DDF0: D8EC1000 9000000C
	ds_read_b64 v[146:147], v12 offset:4224                    // 00000000DDF8: D8EC1080 9200000C
	ds_read_b64 v[148:149], v12 offset:5120                    // 00000000DE00: D8EC1400 9400000C
	ds_read_b64 v[150:151], v12 offset:5248                    // 00000000DE08: D8EC1480 9600000C
	ds_read_b64 v[152:153], v12 offset:6144                    // 00000000DE10: D8EC1800 9800000C
	ds_read_b64 v[154:155], v12 offset:6272                    // 00000000DE18: D8EC1880 9A00000C
	ds_read_b64 v[156:157], v12 offset:7168                    // 00000000DE20: D8EC1C00 9C00000C
	ds_read_b64 v[158:159], v12 offset:7296                    // 00000000DE28: D8EC1C80 9E00000C
	ds_read_b64 v[160:161], v12 offset:8192                    // 00000000DE30: D8EC2000 A000000C
	ds_read_b64 v[162:163], v12 offset:8320                    // 00000000DE38: D8EC2080 A200000C
	ds_read_b64 v[164:165], v12 offset:9216                    // 00000000DE40: D8EC2400 A400000C
	ds_read_b64 v[166:167], v12 offset:9344                    // 00000000DE48: D8EC2480 A600000C
	ds_read_b64 v[168:169], v12 offset:10240                   // 00000000DE50: D8EC2800 A800000C
	ds_read_b64 v[170:171], v12 offset:10368                   // 00000000DE58: D8EC2880 AA00000C
	ds_read_b64 v[172:173], v12 offset:11264                   // 00000000DE60: D8EC2C00 AC00000C
	ds_read_b64 v[174:175], v12 offset:11392                   // 00000000DE68: D8EC2C80 AE00000C
	s_waitcnt lgkmcnt(0)                                       // 00000000DE70: BF8CC07F
	v_mul_f32_e32 v176, v51, v176                              // 00000000DE74: 0B616133
	v_mul_f32_e32 v177, v51, v177                              // 00000000DE78: 0B636333
	v_mul_f32_e32 v178, v51, v178                              // 00000000DE7C: 0B656533
	v_mul_f32_e32 v179, v51, v179                              // 00000000DE80: 0B676733
	v_mul_f32_e32 v180, v51, v180                              // 00000000DE84: 0B696933
	v_mul_f32_e32 v181, v51, v181                              // 00000000DE88: 0B6B6B33
	v_mul_f32_e32 v182, v51, v182                              // 00000000DE8C: 0B6D6D33
	v_mul_f32_e32 v183, v51, v183                              // 00000000DE90: 0B6F6F33
	v_mul_f32_e32 v184, v52, v184                              // 00000000DE94: 0B717134
	v_mul_f32_e32 v185, v52, v185                              // 00000000DE98: 0B737334
	v_mul_f32_e32 v186, v52, v186                              // 00000000DE9C: 0B757534
	v_mul_f32_e32 v187, v52, v187                              // 00000000DEA0: 0B777734
	v_mul_f32_e32 v188, v52, v188                              // 00000000DEA4: 0B797934
	v_mul_f32_e32 v189, v52, v189                              // 00000000DEA8: 0B7B7B34
	v_mul_f32_e32 v190, v52, v190                              // 00000000DEAC: 0B7D7D34
	v_mul_f32_e32 v191, v52, v191                              // 00000000DEB0: 0B7F7F34
	s_waitcnt vmcnt(24)                                        // 00000000DEB4: BF8C4F78
	v_mfma_f32_16x16x16_bf16 v[176:179], a[192:193], v[112:113], v[176:179]// 00000000DEB8: D3E100B0 0EC2E1C0
	buffer_load_dwordx4 a[160:163], v192, s[20:23], 0 offen offset:1024// 00000000DEC0: E05C1400 8085A0C0
	v_mfma_f32_16x16x16_bf16 v[176:179], a[194:195], v[114:115], v[176:179]// 00000000DEC8: D3E100B0 0EC2E5C2
	v_mfma_f32_16x16x16_bf16 v[176:179], a[196:197], v[116:117], v[176:179]// 00000000DED0: D3E100B0 0EC2E9C4
	v_mfma_f32_16x16x16_bf16 v[176:179], a[198:199], v[118:119], v[176:179]// 00000000DED8: D3E100B0 0EC2EDC6
	v_mfma_f32_16x16x16_bf16 v[176:179], a[200:201], v[120:121], v[176:179]// 00000000DEE0: D3E100B0 0EC2F1C8
	buffer_load_dwordx4 a[164:167], v193, s[20:23], 0 offen offset:1024// 00000000DEE8: E05C1400 8085A4C1
	v_mfma_f32_16x16x16_bf16 v[176:179], a[202:203], v[122:123], v[176:179]// 00000000DEF0: D3E100B0 0EC2F5CA
	v_mfma_f32_16x16x16_bf16 v[176:179], a[204:205], v[124:125], v[176:179]// 00000000DEF8: D3E100B0 0EC2F9CC
	v_mfma_f32_16x16x16_bf16 v[176:179], a[206:207], v[126:127], v[176:179]// 00000000DF00: D3E100B0 0EC2FDCE
	v_mfma_f32_16x16x16_bf16 v[176:179], a[208:209], v[128:129], v[176:179]// 00000000DF08: D3E100B0 0EC301D0
	buffer_load_dwordx4 a[168:171], v194, s[20:23], 0 offen offset:1024// 00000000DF10: E05C1400 8085A8C2
	v_mfma_f32_16x16x16_bf16 v[176:179], a[210:211], v[130:131], v[176:179]// 00000000DF18: D3E100B0 0EC305D2
	v_mfma_f32_16x16x16_bf16 v[176:179], a[212:213], v[132:133], v[176:179]// 00000000DF20: D3E100B0 0EC309D4
	v_mfma_f32_16x16x16_bf16 v[176:179], a[214:215], v[134:135], v[176:179]// 00000000DF28: D3E100B0 0EC30DD6
	v_mfma_f32_16x16x16_bf16 v[176:179], a[216:217], v[136:137], v[176:179]// 00000000DF30: D3E100B0 0EC311D8
	buffer_load_dwordx4 a[172:175], v195, s[20:23], 0 offen offset:1024// 00000000DF38: E05C1400 8085ACC3
	v_mfma_f32_16x16x16_bf16 v[176:179], a[218:219], v[138:139], v[176:179]// 00000000DF40: D3E100B0 0EC315DA
	v_mfma_f32_16x16x16_bf16 v[176:179], a[220:221], v[140:141], v[176:179]// 00000000DF48: D3E100B0 0EC319DC
	v_mfma_f32_16x16x16_bf16 v[176:179], a[222:223], v[142:143], v[176:179]// 00000000DF50: D3E100B0 0EC31DDE
	v_mfma_f32_16x16x16_bf16 v[180:183], a[224:225], v[112:113], v[180:183]// 00000000DF58: D3E100B4 0ED2E1E0
	buffer_load_dwordx4 a[176:179], v196, s[20:23], 0 offen offset:1024// 00000000DF60: E05C1400 8085B0C4
	v_mfma_f32_16x16x16_bf16 v[180:183], a[226:227], v[114:115], v[180:183]// 00000000DF68: D3E100B4 0ED2E5E2
	v_mfma_f32_16x16x16_bf16 v[180:183], a[228:229], v[116:117], v[180:183]// 00000000DF70: D3E100B4 0ED2E9E4
	v_mfma_f32_16x16x16_bf16 v[180:183], a[230:231], v[118:119], v[180:183]// 00000000DF78: D3E100B4 0ED2EDE6
	v_mfma_f32_16x16x16_bf16 v[180:183], a[232:233], v[120:121], v[180:183]// 00000000DF80: D3E100B4 0ED2F1E8
	buffer_load_dwordx4 a[180:183], v197, s[20:23], 0 offen offset:1024// 00000000DF88: E05C1400 8085B4C5
	v_mfma_f32_16x16x16_bf16 v[180:183], a[234:235], v[122:123], v[180:183]// 00000000DF90: D3E100B4 0ED2F5EA
	v_mfma_f32_16x16x16_bf16 v[180:183], a[236:237], v[124:125], v[180:183]// 00000000DF98: D3E100B4 0ED2F9EC
	v_mfma_f32_16x16x16_bf16 v[180:183], a[238:239], v[126:127], v[180:183]// 00000000DFA0: D3E100B4 0ED2FDEE
	v_mfma_f32_16x16x16_bf16 v[180:183], a[240:241], v[128:129], v[180:183]// 00000000DFA8: D3E100B4 0ED301F0
	buffer_load_dwordx4 a[184:187], v198, s[20:23], 0 offen offset:1024// 00000000DFB0: E05C1400 8085B8C6
	v_mfma_f32_16x16x16_bf16 v[180:183], a[242:243], v[130:131], v[180:183]// 00000000DFB8: D3E100B4 0ED305F2
	v_mfma_f32_16x16x16_bf16 v[180:183], a[244:245], v[132:133], v[180:183]// 00000000DFC0: D3E100B4 0ED309F4
	v_mfma_f32_16x16x16_bf16 v[180:183], a[246:247], v[134:135], v[180:183]// 00000000DFC8: D3E100B4 0ED30DF6
	v_mfma_f32_16x16x16_bf16 v[180:183], a[248:249], v[136:137], v[180:183]// 00000000DFD0: D3E100B4 0ED311F8
	buffer_load_dwordx4 a[188:191], v199, s[20:23], 0 offen offset:1024// 00000000DFD8: E05C1400 8085BCC7
	v_mfma_f32_16x16x16_bf16 v[180:183], a[250:251], v[138:139], v[180:183]// 00000000DFE0: D3E100B4 0ED315FA
	v_mfma_f32_16x16x16_bf16 v[180:183], a[252:253], v[140:141], v[180:183]// 00000000DFE8: D3E100B4 0ED319FC
	v_mfma_f32_16x16x16_bf16 v[180:183], a[254:255], v[142:143], v[180:183]// 00000000DFF0: D3E100B4 0ED31DFE
	v_mfma_f32_16x16x16_bf16 v[184:187], a[192:193], v[144:145], v[184:187]// 00000000DFF8: D3E100B8 0EE321C0
	v_mfma_f32_16x16x16_bf16 v[184:187], a[194:195], v[146:147], v[184:187]// 00000000E000: D3E100B8 0EE325C2
	v_mfma_f32_16x16x16_bf16 v[184:187], a[196:197], v[148:149], v[184:187]// 00000000E008: D3E100B8 0EE329C4
	v_mfma_f32_16x16x16_bf16 v[184:187], a[198:199], v[150:151], v[184:187]// 00000000E010: D3E100B8 0EE32DC6
	v_mfma_f32_16x16x16_bf16 v[184:187], a[200:201], v[152:153], v[184:187]// 00000000E018: D3E100B8 0EE331C8
	v_mfma_f32_16x16x16_bf16 v[184:187], a[202:203], v[154:155], v[184:187]// 00000000E020: D3E100B8 0EE335CA
	v_mfma_f32_16x16x16_bf16 v[184:187], a[204:205], v[156:157], v[184:187]// 00000000E028: D3E100B8 0EE339CC
	v_mfma_f32_16x16x16_bf16 v[184:187], a[206:207], v[158:159], v[184:187]// 00000000E030: D3E100B8 0EE33DCE
	v_mfma_f32_16x16x16_bf16 v[184:187], a[208:209], v[160:161], v[184:187]// 00000000E038: D3E100B8 0EE341D0
	v_mfma_f32_16x16x16_bf16 v[184:187], a[210:211], v[162:163], v[184:187]// 00000000E040: D3E100B8 0EE345D2
	v_mfma_f32_16x16x16_bf16 v[184:187], a[212:213], v[164:165], v[184:187]// 00000000E048: D3E100B8 0EE349D4
	v_mfma_f32_16x16x16_bf16 v[184:187], a[214:215], v[166:167], v[184:187]// 00000000E050: D3E100B8 0EE34DD6
	v_mfma_f32_16x16x16_bf16 v[184:187], a[216:217], v[168:169], v[184:187]// 00000000E058: D3E100B8 0EE351D8
	v_mfma_f32_16x16x16_bf16 v[184:187], a[218:219], v[170:171], v[184:187]// 00000000E060: D3E100B8 0EE355DA
	v_mfma_f32_16x16x16_bf16 v[184:187], a[220:221], v[172:173], v[184:187]// 00000000E068: D3E100B8 0EE359DC
	v_mfma_f32_16x16x16_bf16 v[184:187], a[222:223], v[174:175], v[184:187]// 00000000E070: D3E100B8 0EE35DDE
	v_mfma_f32_16x16x16_bf16 v[188:191], a[224:225], v[144:145], v[188:191]// 00000000E078: D3E100BC 0EF321E0
	v_mfma_f32_16x16x16_bf16 v[188:191], a[226:227], v[146:147], v[188:191]// 00000000E080: D3E100BC 0EF325E2
	v_mfma_f32_16x16x16_bf16 v[188:191], a[228:229], v[148:149], v[188:191]// 00000000E088: D3E100BC 0EF329E4
	v_mfma_f32_16x16x16_bf16 v[188:191], a[230:231], v[150:151], v[188:191]// 00000000E090: D3E100BC 0EF32DE6
	v_mfma_f32_16x16x16_bf16 v[188:191], a[232:233], v[152:153], v[188:191]// 00000000E098: D3E100BC 0EF331E8
	v_mfma_f32_16x16x16_bf16 v[188:191], a[234:235], v[154:155], v[188:191]// 00000000E0A0: D3E100BC 0EF335EA
	v_mfma_f32_16x16x16_bf16 v[188:191], a[236:237], v[156:157], v[188:191]// 00000000E0A8: D3E100BC 0EF339EC
	v_mfma_f32_16x16x16_bf16 v[188:191], a[238:239], v[158:159], v[188:191]// 00000000E0B0: D3E100BC 0EF33DEE
	v_mfma_f32_16x16x16_bf16 v[188:191], a[240:241], v[160:161], v[188:191]// 00000000E0B8: D3E100BC 0EF341F0
	v_mfma_f32_16x16x16_bf16 v[188:191], a[242:243], v[162:163], v[188:191]// 00000000E0C0: D3E100BC 0EF345F2
	v_mfma_f32_16x16x16_bf16 v[188:191], a[244:245], v[164:165], v[188:191]// 00000000E0C8: D3E100BC 0EF349F4
	v_mfma_f32_16x16x16_bf16 v[188:191], a[246:247], v[166:167], v[188:191]// 00000000E0D0: D3E100BC 0EF34DF6
	v_mfma_f32_16x16x16_bf16 v[188:191], a[248:249], v[168:169], v[188:191]// 00000000E0D8: D3E100BC 0EF351F8
	v_mfma_f32_16x16x16_bf16 v[188:191], a[250:251], v[170:171], v[188:191]// 00000000E0E0: D3E100BC 0EF355FA
	v_mfma_f32_16x16x16_bf16 v[188:191], a[252:253], v[172:173], v[188:191]// 00000000E0E8: D3E100BC 0EF359FC
	v_mfma_f32_16x16x16_bf16 v[188:191], a[254:255], v[174:175], v[188:191]// 00000000E0F0: D3E100BC 0EF35DFE
	s_lshr_b32 s60, s70, 4                                     // 00000000E0F8: 8F3C8446
	s_add_u32 s60, 48, s60                                     // 00000000E0FC: 803C3CB0
	s_cmp_ge_u32 s60, s73                                      // 00000000E100: BF09493C
	s_cselect_b32 s56, 0, s56                                  // 00000000E104: 85383880
	v_mul_u32_u24_dpp v39, v18, v54 row_newbcast:0 row_mask:0xf bank_mask:0xf// 00000000E108: 104E6CFA FF015012
	v_mul_u32_u24_dpp v40, v18, v54 row_newbcast:4 row_mask:0xf bank_mask:0xf// 00000000E110: 10506CFA FF015412
	v_mul_u32_u24_dpp v41, v18, v54 row_newbcast:8 row_mask:0xf bank_mask:0xf// 00000000E118: 10526CFA FF015812
	v_mul_u32_u24_dpp v42, v18, v54 row_newbcast:12 row_mask:0xf bank_mask:0xf// 00000000E120: 10546CFA FF015C12
	v_add_u32_e32 v27, v39, v6                                 // 00000000E128: 68360D27
	v_add_u32_e32 v28, v40, v6                                 // 00000000E12C: 68380D28
	v_add_u32_e32 v29, v41, v6                                 // 00000000E130: 683A0D29
	v_add_u32_e32 v30, v42, v6                                 // 00000000E134: 683C0D2A
	v_mul_u32_u24_dpp v39, v18, v54 row_newbcast:1 row_mask:0xf bank_mask:0xf// 00000000E138: 104E6CFA FF015112
	v_mul_u32_u24_dpp v40, v18, v54 row_newbcast:2 row_mask:0xf bank_mask:0xf// 00000000E140: 10506CFA FF015212
	v_mul_u32_u24_dpp v41, v18, v54 row_newbcast:5 row_mask:0xf bank_mask:0xf// 00000000E148: 10526CFA FF015512
	v_mul_u32_u24_dpp v42, v18, v54 row_newbcast:6 row_mask:0xf bank_mask:0xf// 00000000E150: 10546CFA FF015612
	v_add_u32_e32 v200, v39, v7                                // 00000000E158: 69900F27
	v_add_u32_e32 v201, v40, v7                                // 00000000E15C: 69920F28
	v_add_u32_e32 v202, v41, v7                                // 00000000E160: 69940F29
	v_add_u32_e32 v203, v42, v7                                // 00000000E164: 69960F2A
	v_mul_u32_u24_dpp v39, v18, v54 row_newbcast:9 row_mask:0xf bank_mask:0xf// 00000000E168: 104E6CFA FF015912
	v_mul_u32_u24_dpp v40, v18, v54 row_newbcast:10 row_mask:0xf bank_mask:0xf// 00000000E170: 10506CFA FF015A12
	v_mul_u32_u24_dpp v41, v18, v54 row_newbcast:13 row_mask:0xf bank_mask:0xf// 00000000E178: 10526CFA FF015D12
	v_mul_u32_u24_dpp v42, v18, v54 row_newbcast:7 row_mask:0xf bank_mask:0xf// 00000000E180: 10546CFA FF015712
	v_add_u32_e32 v204, v39, v7                                // 00000000E188: 69980F27
	v_add_u32_e32 v205, v40, v7                                // 00000000E18C: 699A0F28
	v_add_u32_e32 v206, v41, v7                                // 00000000E190: 699C0F29
	v_add_u32_e32 v207, v42, v7                                // 00000000E194: 699E0F2A
	v_add_u32_e32 v1, s56, v1                                  // 00000000E198: 68020238
	s_addk_i32 s70, 0x100                                      // 00000000E19C: B7460100
	s_cmp_lt_i32 s70, s71                                      // 00000000E1A0: BF044746
	s_cbranch_scc0 label_282A                                  // 00000000E1A4: BF84F83F
	s_branch label_282D                                        // 00000000E1A8: BF82F841

000000000000e1ac <label_2FEC>:
	s_lshr_b32 s60, s71, 4                                     // 00000000E1AC: 8F3C8447
	s_cmp_eq_i32 s60, s73                                      // 00000000E1B0: BF00493C
	s_cbranch_scc1 label_3889                                  // 00000000E1B4: BF85089A

000000000000e1b8 <label_2FEF>:
	s_lshr_b32 s60, s71, 8                                     // 00000000E1B8: 8F3C8847
	s_and_b32 s60, s60, 1                                      // 00000000E1BC: 863C813C
	s_cmp_eq_i32 s60, 1                                        // 00000000E1C0: BF00813C
	s_cbranch_scc1 label_343E                                  // 00000000E1C4: BF85044B
	s_waitcnt vmcnt(16) lgkmcnt(0)                             // 00000000E1C8: BF8C4070
	s_barrier                                                  // 00000000E1CC: BF8A0000
	v_mfma_f32_16x16x16_bf16 v[112:115], a[0:1], v[80:81], 0   // 00000000E1D0: D3E10070 0A02A100
	v_mfma_f32_16x16x16_bf16 v[112:115], a[2:3], v[82:83], v[112:115]// 00000000E1D8: D3E10070 0DC2A502
	v_mfma_f32_16x16x16_bf16 v[112:115], a[4:5], v[84:85], v[112:115]// 00000000E1E0: D3E10070 0DC2A904
	v_mfma_f32_16x16x16_bf16 v[112:115], a[6:7], v[86:87], v[112:115]// 00000000E1E8: D3E10070 0DC2AD06
	v_mfma_f32_16x16x16_bf16 v[112:115], a[8:9], v[88:89], v[112:115]// 00000000E1F0: D3E10070 0DC2B108
	v_mfma_f32_16x16x16_bf16 v[112:115], a[10:11], v[90:91], v[112:115]// 00000000E1F8: D3E10070 0DC2B50A
	v_mfma_f32_16x16x16_bf16 v[112:115], a[12:13], v[92:93], v[112:115]// 00000000E200: D3E10070 0DC2B90C
	v_mfma_f32_16x16x16_bf16 v[112:115], a[14:15], v[94:95], v[112:115]// 00000000E208: D3E10070 0DC2BD0E
	v_mfma_f32_16x16x16_bf16 v[116:119], a[16:17], v[80:81], 0 // 00000000E210: D3E10074 0A02A110
	v_mfma_f32_16x16x16_bf16 v[116:119], a[18:19], v[82:83], v[116:119]// 00000000E218: D3E10074 0DD2A512
	v_mfma_f32_16x16x16_bf16 v[116:119], a[20:21], v[84:85], v[116:119]// 00000000E220: D3E10074 0DD2A914
	v_mfma_f32_16x16x16_bf16 v[116:119], a[22:23], v[86:87], v[116:119]// 00000000E228: D3E10074 0DD2AD16
	v_mfma_f32_16x16x16_bf16 v[116:119], a[24:25], v[88:89], v[116:119]// 00000000E230: D3E10074 0DD2B118
	v_mfma_f32_16x16x16_bf16 v[116:119], a[26:27], v[90:91], v[116:119]// 00000000E238: D3E10074 0DD2B51A
	v_mfma_f32_16x16x16_bf16 v[116:119], a[28:29], v[92:93], v[116:119]// 00000000E240: D3E10074 0DD2B91C
	v_mfma_f32_16x16x16_bf16 v[116:119], a[30:31], v[94:95], v[116:119]// 00000000E248: D3E10074 0DD2BD1E
	v_mfma_f32_16x16x16_bf16 v[120:123], a[32:33], v[80:81], 0 // 00000000E250: D3E10078 0A02A120
	v_mfma_f32_16x16x16_bf16 v[120:123], a[34:35], v[82:83], v[120:123]// 00000000E258: D3E10078 0DE2A522
	v_mfma_f32_16x16x16_bf16 v[120:123], a[36:37], v[84:85], v[120:123]// 00000000E260: D3E10078 0DE2A924
	v_mfma_f32_16x16x16_bf16 v[120:123], a[38:39], v[86:87], v[120:123]// 00000000E268: D3E10078 0DE2AD26
	v_mfma_f32_16x16x16_bf16 v[120:123], a[40:41], v[88:89], v[120:123]// 00000000E270: D3E10078 0DE2B128
	v_mfma_f32_16x16x16_bf16 v[120:123], a[42:43], v[90:91], v[120:123]// 00000000E278: D3E10078 0DE2B52A
	v_mfma_f32_16x16x16_bf16 v[120:123], a[44:45], v[92:93], v[120:123]// 00000000E280: D3E10078 0DE2B92C
	v_mfma_f32_16x16x16_bf16 v[120:123], a[46:47], v[94:95], v[120:123]// 00000000E288: D3E10078 0DE2BD2E
	v_mfma_f32_16x16x16_bf16 v[124:127], a[48:49], v[80:81], 0 // 00000000E290: D3E1007C 0A02A130
	v_mfma_f32_16x16x16_bf16 v[124:127], a[50:51], v[82:83], v[124:127]// 00000000E298: D3E1007C 0DF2A532
	v_mfma_f32_16x16x16_bf16 v[124:127], a[52:53], v[84:85], v[124:127]// 00000000E2A0: D3E1007C 0DF2A934
	v_mfma_f32_16x16x16_bf16 v[124:127], a[54:55], v[86:87], v[124:127]// 00000000E2A8: D3E1007C 0DF2AD36
	v_mfma_f32_16x16x16_bf16 v[124:127], a[56:57], v[88:89], v[124:127]// 00000000E2B0: D3E1007C 0DF2B138
	v_mfma_f32_16x16x16_bf16 v[124:127], a[58:59], v[90:91], v[124:127]// 00000000E2B8: D3E1007C 0DF2B53A
	v_mfma_f32_16x16x16_bf16 v[124:127], a[60:61], v[92:93], v[124:127]// 00000000E2C0: D3E1007C 0DF2B93C
	v_mfma_f32_16x16x16_bf16 v[124:127], a[62:63], v[94:95], v[124:127]// 00000000E2C8: D3E1007C 0DF2BD3E
	v_mfma_f32_16x16x16_bf16 v[144:147], a[0:1], v[96:97], 0   // 00000000E2D0: D3E10090 0A02C100
	v_mfma_f32_16x16x16_bf16 v[144:147], a[2:3], v[98:99], v[144:147]// 00000000E2D8: D3E10090 0E42C502
	v_mfma_f32_16x16x16_bf16 v[144:147], a[4:5], v[100:101], v[144:147]// 00000000E2E0: D3E10090 0E42C904
	v_mfma_f32_16x16x16_bf16 v[144:147], a[6:7], v[102:103], v[144:147]// 00000000E2E8: D3E10090 0E42CD06
	v_mfma_f32_16x16x16_bf16 v[144:147], a[8:9], v[104:105], v[144:147]// 00000000E2F0: D3E10090 0E42D108
	v_mfma_f32_16x16x16_bf16 v[144:147], a[10:11], v[106:107], v[144:147]// 00000000E2F8: D3E10090 0E42D50A
	v_mfma_f32_16x16x16_bf16 v[144:147], a[12:13], v[108:109], v[144:147]// 00000000E300: D3E10090 0E42D90C
	v_mfma_f32_16x16x16_bf16 v[144:147], a[14:15], v[110:111], v[144:147]// 00000000E308: D3E10090 0E42DD0E
	v_mfma_f32_16x16x16_bf16 v[148:151], a[16:17], v[96:97], 0 // 00000000E310: D3E10094 0A02C110
	v_mfma_f32_16x16x16_bf16 v[148:151], a[18:19], v[98:99], v[148:151]// 00000000E318: D3E10094 0E52C512
	v_mfma_f32_16x16x16_bf16 v[148:151], a[20:21], v[100:101], v[148:151]// 00000000E320: D3E10094 0E52C914
	v_mfma_f32_16x16x16_bf16 v[148:151], a[22:23], v[102:103], v[148:151]// 00000000E328: D3E10094 0E52CD16
	v_mfma_f32_16x16x16_bf16 v[148:151], a[24:25], v[104:105], v[148:151]// 00000000E330: D3E10094 0E52D118
	v_mfma_f32_16x16x16_bf16 v[148:151], a[26:27], v[106:107], v[148:151]// 00000000E338: D3E10094 0E52D51A
	v_mfma_f32_16x16x16_bf16 v[148:151], a[28:29], v[108:109], v[148:151]// 00000000E340: D3E10094 0E52D91C
	v_mfma_f32_16x16x16_bf16 v[148:151], a[30:31], v[110:111], v[148:151]// 00000000E348: D3E10094 0E52DD1E
	v_mfma_f32_16x16x16_bf16 v[152:155], a[32:33], v[96:97], 0 // 00000000E350: D3E10098 0A02C120
	v_mfma_f32_16x16x16_bf16 v[152:155], a[34:35], v[98:99], v[152:155]// 00000000E358: D3E10098 0E62C522
	v_mfma_f32_16x16x16_bf16 v[152:155], a[36:37], v[100:101], v[152:155]// 00000000E360: D3E10098 0E62C924
	v_mfma_f32_16x16x16_bf16 v[152:155], a[38:39], v[102:103], v[152:155]// 00000000E368: D3E10098 0E62CD26
	v_mfma_f32_16x16x16_bf16 v[152:155], a[40:41], v[104:105], v[152:155]// 00000000E370: D3E10098 0E62D128
	v_mfma_f32_16x16x16_bf16 v[152:155], a[42:43], v[106:107], v[152:155]// 00000000E378: D3E10098 0E62D52A
	v_mfma_f32_16x16x16_bf16 v[152:155], a[44:45], v[108:109], v[152:155]// 00000000E380: D3E10098 0E62D92C
	v_mfma_f32_16x16x16_bf16 v[152:155], a[46:47], v[110:111], v[152:155]// 00000000E388: D3E10098 0E62DD2E
	v_mfma_f32_16x16x16_bf16 v[156:159], a[48:49], v[96:97], 0 // 00000000E390: D3E1009C 0A02C130
	v_mfma_f32_16x16x16_bf16 v[156:159], a[50:51], v[98:99], v[156:159]// 00000000E398: D3E1009C 0E72C532
	v_mfma_f32_16x16x16_bf16 v[156:159], a[52:53], v[100:101], v[156:159]// 00000000E3A0: D3E1009C 0E72C934
	v_mfma_f32_16x16x16_bf16 v[156:159], a[54:55], v[102:103], v[156:159]// 00000000E3A8: D3E1009C 0E72CD36
	v_mfma_f32_16x16x16_bf16 v[156:159], a[56:57], v[104:105], v[156:159]// 00000000E3B0: D3E1009C 0E72D138
	v_mfma_f32_16x16x16_bf16 v[156:159], a[58:59], v[106:107], v[156:159]// 00000000E3B8: D3E1009C 0E72D53A
	v_mfma_f32_16x16x16_bf16 v[156:159], a[60:61], v[108:109], v[156:159]// 00000000E3C0: D3E1009C 0E72D93C
	v_mfma_f32_16x16x16_bf16 v[156:159], a[62:63], v[110:111], v[156:159]// 00000000E3C8: D3E1009C 0E72DD3E
	s_nop 8                                                    // 00000000E3D0: BF800008
	s_and_b32 s60, s72, 0xff                                   // 00000000E3D4: 863CFF48 000000FF
	v_mov_b32_e32 v56, s60                                     // 00000000E3DC: 7E70023C
	v_lshrrev_b32_e32 v31, 4, v0                               // 00000000E3E0: 203E0084
	v_mul_i32_i24_e32 v31, 4, v31                              // 00000000E3E4: 0C3E3E84
	s_mul_i32 s60, s7, 16                                      // 00000000E3E8: 923C9007
	v_add_u32_e32 v31, s60, v31                                // 00000000E3EC: 683E3E3C
	v_add_u32_e32 v32, 1, v31                                  // 00000000E3F0: 68403E81
	v_add_u32_e32 v33, 2, v31                                  // 00000000E3F4: 68423E82
	v_add_u32_e32 v34, 3, v31                                  // 00000000E3F8: 68443E83
	v_mov_b32_e32 v39, v55                                     // 00000000E3FC: 7E4E0337
	v_cmp_lt_u32_e64 s[40:41], v31, v56                        // 00000000E400: D0C90028 0002711F
	v_add_u32_e32 v31, 64, v31                                 // 00000000E408: 683E3EC0
	s_nop 0                                                    // 00000000E40C: BF800000
	v_cndmask_b32_e64 v112, v39, v112, s[40:41]                // 00000000E410: D1000070 00A2E127
	v_cmp_lt_u32_e64 s[40:41], v32, v56                        // 00000000E418: D0C90028 00027120
	v_add_u32_e32 v32, 64, v32                                 // 00000000E420: 684040C0
	s_nop 0                                                    // 00000000E424: BF800000
	v_cndmask_b32_e64 v113, v39, v113, s[40:41]                // 00000000E428: D1000071 00A2E327
	v_cmp_lt_u32_e64 s[40:41], v33, v56                        // 00000000E430: D0C90028 00027121
	v_add_u32_e32 v33, 64, v33                                 // 00000000E438: 684242C0
	s_nop 0                                                    // 00000000E43C: BF800000
	v_cndmask_b32_e64 v114, v39, v114, s[40:41]                // 00000000E440: D1000072 00A2E527
	v_cmp_lt_u32_e64 s[40:41], v34, v56                        // 00000000E448: D0C90028 00027122
	v_add_u32_e32 v34, 64, v34                                 // 00000000E450: 684444C0
	s_nop 0                                                    // 00000000E454: BF800000
	v_cndmask_b32_e64 v115, v39, v115, s[40:41]                // 00000000E458: D1000073 00A2E727
	v_cmp_lt_u32_e64 s[40:41], v31, v56                        // 00000000E460: D0C90028 0002711F
	v_add_u32_e32 v31, 64, v31                                 // 00000000E468: 683E3EC0
	s_nop 0                                                    // 00000000E46C: BF800000
	v_cndmask_b32_e64 v116, v39, v116, s[40:41]                // 00000000E470: D1000074 00A2E927
	v_cmp_lt_u32_e64 s[40:41], v32, v56                        // 00000000E478: D0C90028 00027120
	v_add_u32_e32 v32, 64, v32                                 // 00000000E480: 684040C0
	s_nop 0                                                    // 00000000E484: BF800000
	v_cndmask_b32_e64 v117, v39, v117, s[40:41]                // 00000000E488: D1000075 00A2EB27
	v_cmp_lt_u32_e64 s[40:41], v33, v56                        // 00000000E490: D0C90028 00027121
	v_add_u32_e32 v33, 64, v33                                 // 00000000E498: 684242C0
	s_nop 0                                                    // 00000000E49C: BF800000
	v_cndmask_b32_e64 v118, v39, v118, s[40:41]                // 00000000E4A0: D1000076 00A2ED27
	v_cmp_lt_u32_e64 s[40:41], v34, v56                        // 00000000E4A8: D0C90028 00027122
	v_add_u32_e32 v34, 64, v34                                 // 00000000E4B0: 684444C0
	s_nop 0                                                    // 00000000E4B4: BF800000
	v_cndmask_b32_e64 v119, v39, v119, s[40:41]                // 00000000E4B8: D1000077 00A2EF27
	v_cmp_lt_u32_e64 s[40:41], v31, v56                        // 00000000E4C0: D0C90028 0002711F
	v_add_u32_e32 v31, 64, v31                                 // 00000000E4C8: 683E3EC0
	s_nop 0                                                    // 00000000E4CC: BF800000
	v_cndmask_b32_e64 v120, v39, v120, s[40:41]                // 00000000E4D0: D1000078 00A2F127
	v_cmp_lt_u32_e64 s[40:41], v32, v56                        // 00000000E4D8: D0C90028 00027120
	v_add_u32_e32 v32, 64, v32                                 // 00000000E4E0: 684040C0
	s_nop 0                                                    // 00000000E4E4: BF800000
	v_cndmask_b32_e64 v121, v39, v121, s[40:41]                // 00000000E4E8: D1000079 00A2F327
	v_cmp_lt_u32_e64 s[40:41], v33, v56                        // 00000000E4F0: D0C90028 00027121
	v_add_u32_e32 v33, 64, v33                                 // 00000000E4F8: 684242C0
	s_nop 0                                                    // 00000000E4FC: BF800000
	v_cndmask_b32_e64 v122, v39, v122, s[40:41]                // 00000000E500: D100007A 00A2F527
	v_cmp_lt_u32_e64 s[40:41], v34, v56                        // 00000000E508: D0C90028 00027122
	v_add_u32_e32 v34, 64, v34                                 // 00000000E510: 684444C0
	s_nop 0                                                    // 00000000E514: BF800000
	v_cndmask_b32_e64 v123, v39, v123, s[40:41]                // 00000000E518: D100007B 00A2F727
	v_cmp_lt_u32_e64 s[40:41], v31, v56                        // 00000000E520: D0C90028 0002711F
	v_add_u32_e32 v31, 64, v31                                 // 00000000E528: 683E3EC0
	s_nop 0                                                    // 00000000E52C: BF800000
	v_cndmask_b32_e64 v124, v39, v124, s[40:41]                // 00000000E530: D100007C 00A2F927
	v_cmp_lt_u32_e64 s[40:41], v32, v56                        // 00000000E538: D0C90028 00027120
	v_add_u32_e32 v32, 64, v32                                 // 00000000E540: 684040C0
	s_nop 0                                                    // 00000000E544: BF800000
	v_cndmask_b32_e64 v125, v39, v125, s[40:41]                // 00000000E548: D100007D 00A2FB27
	v_cmp_lt_u32_e64 s[40:41], v33, v56                        // 00000000E550: D0C90028 00027121
	v_add_u32_e32 v33, 64, v33                                 // 00000000E558: 684242C0
	s_nop 0                                                    // 00000000E55C: BF800000
	v_cndmask_b32_e64 v126, v39, v126, s[40:41]                // 00000000E560: D100007E 00A2FD27
	v_cmp_lt_u32_e64 s[40:41], v34, v56                        // 00000000E568: D0C90028 00027122
	v_add_u32_e32 v34, 64, v34                                 // 00000000E570: 684444C0
	s_nop 0                                                    // 00000000E574: BF800000
	v_cndmask_b32_e64 v127, v39, v127, s[40:41]                // 00000000E578: D100007F 00A2FF27
	s_and_b32 s60, s72, 0xff                                   // 00000000E580: 863CFF48 000000FF
	v_mov_b32_e32 v56, s60                                     // 00000000E588: 7E70023C
	v_lshrrev_b32_e32 v31, 4, v0                               // 00000000E58C: 203E0084
	v_mul_i32_i24_e32 v31, 4, v31                              // 00000000E590: 0C3E3E84
	s_mul_i32 s60, s7, 16                                      // 00000000E594: 923C9007
	v_add_u32_e32 v31, s60, v31                                // 00000000E598: 683E3E3C
	v_add_u32_e32 v32, 1, v31                                  // 00000000E59C: 68403E81
	v_add_u32_e32 v33, 2, v31                                  // 00000000E5A0: 68423E82
	v_add_u32_e32 v34, 3, v31                                  // 00000000E5A4: 68443E83
	v_mov_b32_e32 v39, v55                                     // 00000000E5A8: 7E4E0337
	v_cmp_lt_u32_e64 s[40:41], v31, v56                        // 00000000E5AC: D0C90028 0002711F
	v_add_u32_e32 v31, 64, v31                                 // 00000000E5B4: 683E3EC0
	s_nop 0                                                    // 00000000E5B8: BF800000
	v_cndmask_b32_e64 v144, v39, v144, s[40:41]                // 00000000E5BC: D1000090 00A32127
	v_cmp_lt_u32_e64 s[40:41], v32, v56                        // 00000000E5C4: D0C90028 00027120
	v_add_u32_e32 v32, 64, v32                                 // 00000000E5CC: 684040C0
	s_nop 0                                                    // 00000000E5D0: BF800000
	v_cndmask_b32_e64 v145, v39, v145, s[40:41]                // 00000000E5D4: D1000091 00A32327
	v_cmp_lt_u32_e64 s[40:41], v33, v56                        // 00000000E5DC: D0C90028 00027121
	v_add_u32_e32 v33, 64, v33                                 // 00000000E5E4: 684242C0
	s_nop 0                                                    // 00000000E5E8: BF800000
	v_cndmask_b32_e64 v146, v39, v146, s[40:41]                // 00000000E5EC: D1000092 00A32527
	v_cmp_lt_u32_e64 s[40:41], v34, v56                        // 00000000E5F4: D0C90028 00027122
	v_add_u32_e32 v34, 64, v34                                 // 00000000E5FC: 684444C0
	s_nop 0                                                    // 00000000E600: BF800000
	v_cndmask_b32_e64 v147, v39, v147, s[40:41]                // 00000000E604: D1000093 00A32727
	v_cmp_lt_u32_e64 s[40:41], v31, v56                        // 00000000E60C: D0C90028 0002711F
	v_add_u32_e32 v31, 64, v31                                 // 00000000E614: 683E3EC0
	s_nop 0                                                    // 00000000E618: BF800000
	v_cndmask_b32_e64 v148, v39, v148, s[40:41]                // 00000000E61C: D1000094 00A32927
	v_cmp_lt_u32_e64 s[40:41], v32, v56                        // 00000000E624: D0C90028 00027120
	v_add_u32_e32 v32, 64, v32                                 // 00000000E62C: 684040C0
	s_nop 0                                                    // 00000000E630: BF800000
	v_cndmask_b32_e64 v149, v39, v149, s[40:41]                // 00000000E634: D1000095 00A32B27
	v_cmp_lt_u32_e64 s[40:41], v33, v56                        // 00000000E63C: D0C90028 00027121
	v_add_u32_e32 v33, 64, v33                                 // 00000000E644: 684242C0
	s_nop 0                                                    // 00000000E648: BF800000
	v_cndmask_b32_e64 v150, v39, v150, s[40:41]                // 00000000E64C: D1000096 00A32D27
	v_cmp_lt_u32_e64 s[40:41], v34, v56                        // 00000000E654: D0C90028 00027122
	v_add_u32_e32 v34, 64, v34                                 // 00000000E65C: 684444C0
	s_nop 0                                                    // 00000000E660: BF800000
	v_cndmask_b32_e64 v151, v39, v151, s[40:41]                // 00000000E664: D1000097 00A32F27
	v_cmp_lt_u32_e64 s[40:41], v31, v56                        // 00000000E66C: D0C90028 0002711F
	v_add_u32_e32 v31, 64, v31                                 // 00000000E674: 683E3EC0
	s_nop 0                                                    // 00000000E678: BF800000
	v_cndmask_b32_e64 v152, v39, v152, s[40:41]                // 00000000E67C: D1000098 00A33127
	v_cmp_lt_u32_e64 s[40:41], v32, v56                        // 00000000E684: D0C90028 00027120
	v_add_u32_e32 v32, 64, v32                                 // 00000000E68C: 684040C0
	s_nop 0                                                    // 00000000E690: BF800000
	v_cndmask_b32_e64 v153, v39, v153, s[40:41]                // 00000000E694: D1000099 00A33327
	v_cmp_lt_u32_e64 s[40:41], v33, v56                        // 00000000E69C: D0C90028 00027121
	v_add_u32_e32 v33, 64, v33                                 // 00000000E6A4: 684242C0
	s_nop 0                                                    // 00000000E6A8: BF800000
	v_cndmask_b32_e64 v154, v39, v154, s[40:41]                // 00000000E6AC: D100009A 00A33527
	v_cmp_lt_u32_e64 s[40:41], v34, v56                        // 00000000E6B4: D0C90028 00027122
	v_add_u32_e32 v34, 64, v34                                 // 00000000E6BC: 684444C0
	s_nop 0                                                    // 00000000E6C0: BF800000
	v_cndmask_b32_e64 v155, v39, v155, s[40:41]                // 00000000E6C4: D100009B 00A33727
	v_cmp_lt_u32_e64 s[40:41], v31, v56                        // 00000000E6CC: D0C90028 0002711F
	v_add_u32_e32 v31, 64, v31                                 // 00000000E6D4: 683E3EC0
	s_nop 0                                                    // 00000000E6D8: BF800000
	v_cndmask_b32_e64 v156, v39, v156, s[40:41]                // 00000000E6DC: D100009C 00A33927
	v_cmp_lt_u32_e64 s[40:41], v32, v56                        // 00000000E6E4: D0C90028 00027120
	v_add_u32_e32 v32, 64, v32                                 // 00000000E6EC: 684040C0
	s_nop 0                                                    // 00000000E6F0: BF800000
	v_cndmask_b32_e64 v157, v39, v157, s[40:41]                // 00000000E6F4: D100009D 00A33B27
	v_cmp_lt_u32_e64 s[40:41], v33, v56                        // 00000000E6FC: D0C90028 00027121
	v_add_u32_e32 v33, 64, v33                                 // 00000000E704: 684242C0
	s_nop 0                                                    // 00000000E708: BF800000
	v_cndmask_b32_e64 v158, v39, v158, s[40:41]                // 00000000E70C: D100009E 00A33D27
	v_cmp_lt_u32_e64 s[40:41], v34, v56                        // 00000000E714: D0C90028 00027122
	v_add_u32_e32 v34, 64, v34                                 // 00000000E71C: 684444C0
	s_nop 0                                                    // 00000000E720: BF800000
	v_cndmask_b32_e64 v159, v39, v159, s[40:41]                // 00000000E724: D100009F 00A33F27
	s_nop 8                                                    // 00000000E72C: BF800008
	v_mov_b32_e32 v50, v112                                    // 00000000E730: 7E640370
	v_max3_f32 v50, v112, v113, v50                            // 00000000E734: D1D30032 04CAE370
	v_max3_f32 v50, v114, v115, v50                            // 00000000E73C: D1D30032 04CAE772
	v_max3_f32 v50, v116, v117, v50                            // 00000000E744: D1D30032 04CAEB74
	v_max3_f32 v50, v118, v119, v50                            // 00000000E74C: D1D30032 04CAEF76
	v_max3_f32 v50, v120, v121, v50                            // 00000000E754: D1D30032 04CAF378
	v_max3_f32 v50, v122, v123, v50                            // 00000000E75C: D1D30032 04CAF77A
	v_max3_f32 v50, v124, v125, v50                            // 00000000E764: D1D30032 04CAFB7C
	v_max3_f32 v50, v126, v127, v50                            // 00000000E76C: D1D30032 04CAFF7E
	ds_write_b32 v11, v50                                      // 00000000E774: D81A0000 0000320B
	s_waitcnt lgkmcnt(0)                                       // 00000000E77C: BF8CC07F
	s_barrier                                                  // 00000000E780: BF8A0000
	ds_read_b32 v64, v10                                       // 00000000E784: D86C0000 4000000A
	ds_read_b32 v65, v10 offset:64                             // 00000000E78C: D86C0040 4100000A
	ds_read_b32 v66, v10 offset:128                            // 00000000E794: D86C0080 4200000A
	ds_read_b32 v67, v10 offset:192                            // 00000000E79C: D86C00C0 4300000A
	ds_read_b32 v68, v10 offset:256                            // 00000000E7A4: D86C0100 4400000A
	ds_read_b32 v69, v10 offset:320                            // 00000000E7AC: D86C0140 4500000A
	ds_read_b32 v70, v10 offset:384                            // 00000000E7B4: D86C0180 4600000A
	ds_read_b32 v71, v10 offset:448                            // 00000000E7BC: D86C01C0 4700000A
	ds_read_b32 v72, v10 offset:512                            // 00000000E7C4: D86C0200 4800000A
	ds_read_b32 v73, v10 offset:576                            // 00000000E7CC: D86C0240 4900000A
	ds_read_b32 v74, v10 offset:640                            // 00000000E7D4: D86C0280 4A00000A
	ds_read_b32 v75, v10 offset:704                            // 00000000E7DC: D86C02C0 4B00000A
	ds_read_b32 v76, v10 offset:768                            // 00000000E7E4: D86C0300 4C00000A
	ds_read_b32 v77, v10 offset:832                            // 00000000E7EC: D86C0340 4D00000A
	ds_read_b32 v78, v10 offset:896                            // 00000000E7F4: D86C0380 4E00000A
	ds_read_b32 v79, v10 offset:960                            // 00000000E7FC: D86C03C0 4F00000A
	s_waitcnt lgkmcnt(0)                                       // 00000000E804: BF8CC07F
	v_max3_f32 v50, v64, v65, v50                              // 00000000E808: D1D30032 04CA8340
	v_max3_f32 v50, v66, v67, v50                              // 00000000E810: D1D30032 04CA8742
	v_max3_f32 v50, v68, v69, v50                              // 00000000E818: D1D30032 04CA8B44
	v_max3_f32 v50, v70, v71, v50                              // 00000000E820: D1D30032 04CA8F46
	v_max3_f32 v50, v72, v73, v50                              // 00000000E828: D1D30032 04CA9348
	v_max3_f32 v50, v74, v75, v50                              // 00000000E830: D1D30032 04CA974A
	v_max3_f32 v50, v76, v77, v50                              // 00000000E838: D1D30032 04CA9B4C
	v_max3_f32 v50, v78, v79, v50                              // 00000000E840: D1D30032 04CA9F4E
	v_cmp_eq_u32_e64 s[40:41], v55, v14                        // 00000000E848: D0CA0028 00021D37
	s_nop 1                                                    // 00000000E850: BF800001
	v_max_f32_e32 v16, v50, v14                                // 00000000E854: 16201D32
	v_sub_f32_e32 v51, v14, v16                                // 00000000E858: 0466210E
	v_cndmask_b32_e64 v51, v51, 0, s[40:41]                    // 00000000E85C: D1000033 00A10133
	v_mov_b32_e32 v14, v16                                     // 00000000E864: 7E1C0310
	v_mul_f32_e32 v53, s64, v16                                // 00000000E868: 0A6A2040
	v_mul_f32_e32 v51, s64, v51                                // 00000000E86C: 0A666640
	v_exp_f32_e32 v51, v51                                     // 00000000E870: 7E664133
	v_fma_f32 v112, v112, s64, -v53                            // 00000000E874: D1CB0070 84D48170
	v_fma_f32 v113, v113, s64, -v53                            // 00000000E87C: D1CB0071 84D48171
	v_fma_f32 v114, v114, s64, -v53                            // 00000000E884: D1CB0072 84D48172
	v_fma_f32 v115, v115, s64, -v53                            // 00000000E88C: D1CB0073 84D48173
	v_fma_f32 v116, v116, s64, -v53                            // 00000000E894: D1CB0074 84D48174
	v_fma_f32 v117, v117, s64, -v53                            // 00000000E89C: D1CB0075 84D48175
	v_fma_f32 v118, v118, s64, -v53                            // 00000000E8A4: D1CB0076 84D48176
	v_fma_f32 v119, v119, s64, -v53                            // 00000000E8AC: D1CB0077 84D48177
	v_fma_f32 v120, v120, s64, -v53                            // 00000000E8B4: D1CB0078 84D48178
	v_fma_f32 v121, v121, s64, -v53                            // 00000000E8BC: D1CB0079 84D48179
	v_fma_f32 v122, v122, s64, -v53                            // 00000000E8C4: D1CB007A 84D4817A
	v_fma_f32 v123, v123, s64, -v53                            // 00000000E8CC: D1CB007B 84D4817B
	v_fma_f32 v124, v124, s64, -v53                            // 00000000E8D4: D1CB007C 84D4817C
	v_fma_f32 v125, v125, s64, -v53                            // 00000000E8DC: D1CB007D 84D4817D
	v_fma_f32 v126, v126, s64, -v53                            // 00000000E8E4: D1CB007E 84D4817E
	v_fma_f32 v127, v127, s64, -v53                            // 00000000E8EC: D1CB007F 84D4817F
	v_exp_f32_e32 v112, v112                                   // 00000000E8F4: 7EE04170
	v_exp_f32_e32 v113, v113                                   // 00000000E8F8: 7EE24171
	v_exp_f32_e32 v114, v114                                   // 00000000E8FC: 7EE44172
	v_exp_f32_e32 v115, v115                                   // 00000000E900: 7EE64173
	v_exp_f32_e32 v116, v116                                   // 00000000E904: 7EE84174
	v_exp_f32_e32 v117, v117                                   // 00000000E908: 7EEA4175
	v_exp_f32_e32 v118, v118                                   // 00000000E90C: 7EEC4176
	v_exp_f32_e32 v119, v119                                   // 00000000E910: 7EEE4177
	v_exp_f32_e32 v120, v120                                   // 00000000E914: 7EF04178
	v_exp_f32_e32 v121, v121                                   // 00000000E918: 7EF24179
	v_exp_f32_e32 v122, v122                                   // 00000000E91C: 7EF4417A
	v_exp_f32_e32 v123, v123                                   // 00000000E920: 7EF6417B
	v_exp_f32_e32 v124, v124                                   // 00000000E924: 7EF8417C
	v_exp_f32_e32 v125, v125                                   // 00000000E928: 7EFA417D
	v_exp_f32_e32 v126, v126                                   // 00000000E92C: 7EFC417E
	v_exp_f32_e32 v127, v127                                   // 00000000E930: 7EFE417F
	v_mul_f32_e32 v43, v51, v43                                // 00000000E934: 0A565733
	v_mov_b32_e32 v45, v112                                    // 00000000E938: 7E5A0370
	v_add_f32_e32 v45, v113, v45                               // 00000000E93C: 025A5B71
	v_add_f32_e32 v45, v114, v45                               // 00000000E940: 025A5B72
	v_add_f32_e32 v45, v115, v45                               // 00000000E944: 025A5B73
	v_add_f32_e32 v45, v116, v45                               // 00000000E948: 025A5B74
	v_add_f32_e32 v45, v117, v45                               // 00000000E94C: 025A5B75
	v_add_f32_e32 v45, v118, v45                               // 00000000E950: 025A5B76
	v_add_f32_e32 v45, v119, v45                               // 00000000E954: 025A5B77
	v_add_f32_e32 v45, v120, v45                               // 00000000E958: 025A5B78
	v_add_f32_e32 v45, v121, v45                               // 00000000E95C: 025A5B79
	v_add_f32_e32 v45, v122, v45                               // 00000000E960: 025A5B7A
	v_add_f32_e32 v45, v123, v45                               // 00000000E964: 025A5B7B
	v_add_f32_e32 v45, v124, v45                               // 00000000E968: 025A5B7C
	v_add_f32_e32 v45, v125, v45                               // 00000000E96C: 025A5B7D
	v_add_f32_e32 v45, v126, v45                               // 00000000E970: 025A5B7E
	v_add_f32_e32 v45, v127, v45                               // 00000000E974: 025A5B7F
	v_add_f32_e32 v43, v45, v43                                // 00000000E978: 0256572D
	v_cmp_u_f32_e64 s[40:41], v112, v112                       // 00000000E97C: D0480028 0002E170
	v_add3_u32 v19, v112, v22, 1                               // 00000000E984: D1FF0013 02062D70
	v_cndmask_b32_e64 v39, v19, v21, s[40:41]                  // 00000000E98C: D1000027 00A22B13
	v_cmp_u_f32_e64 s[40:41], v113, v113                       // 00000000E994: D0480028 0002E371
	v_add3_u32 v19, v113, v22, 1                               // 00000000E99C: D1FF0013 02062D71
	v_cndmask_b32_e64 v40, v19, v21, s[40:41]                  // 00000000E9A4: D1000028 00A22B13
	v_perm_b32 v112, v40, v39, s52                             // 00000000E9AC: D1ED0070 00D24F28
	v_cmp_u_f32_e64 s[40:41], v114, v114                       // 00000000E9B4: D0480028 0002E572
	v_add3_u32 v19, v114, v22, 1                               // 00000000E9BC: D1FF0013 02062D72
	v_cndmask_b32_e64 v39, v19, v21, s[40:41]                  // 00000000E9C4: D1000027 00A22B13
	v_cmp_u_f32_e64 s[40:41], v115, v115                       // 00000000E9CC: D0480028 0002E773
	v_add3_u32 v19, v115, v22, 1                               // 00000000E9D4: D1FF0013 02062D73
	v_cndmask_b32_e64 v40, v19, v21, s[40:41]                  // 00000000E9DC: D1000028 00A22B13
	v_perm_b32 v113, v40, v39, s52                             // 00000000E9E4: D1ED0071 00D24F28
	v_cmp_u_f32_e64 s[40:41], v116, v116                       // 00000000E9EC: D0480028 0002E974
	v_add3_u32 v19, v116, v22, 1                               // 00000000E9F4: D1FF0013 02062D74
	v_cndmask_b32_e64 v39, v19, v21, s[40:41]                  // 00000000E9FC: D1000027 00A22B13
	v_cmp_u_f32_e64 s[40:41], v117, v117                       // 00000000EA04: D0480028 0002EB75
	v_add3_u32 v19, v117, v22, 1                               // 00000000EA0C: D1FF0013 02062D75
	v_cndmask_b32_e64 v40, v19, v21, s[40:41]                  // 00000000EA14: D1000028 00A22B13
	v_perm_b32 v114, v40, v39, s52                             // 00000000EA1C: D1ED0072 00D24F28
	v_cmp_u_f32_e64 s[40:41], v118, v118                       // 00000000EA24: D0480028 0002ED76
	v_add3_u32 v19, v118, v22, 1                               // 00000000EA2C: D1FF0013 02062D76
	v_cndmask_b32_e64 v39, v19, v21, s[40:41]                  // 00000000EA34: D1000027 00A22B13
	v_cmp_u_f32_e64 s[40:41], v119, v119                       // 00000000EA3C: D0480028 0002EF77
	v_add3_u32 v19, v119, v22, 1                               // 00000000EA44: D1FF0013 02062D77
	v_cndmask_b32_e64 v40, v19, v21, s[40:41]                  // 00000000EA4C: D1000028 00A22B13
	v_perm_b32 v115, v40, v39, s52                             // 00000000EA54: D1ED0073 00D24F28
	v_cmp_u_f32_e64 s[40:41], v120, v120                       // 00000000EA5C: D0480028 0002F178
	v_add3_u32 v19, v120, v22, 1                               // 00000000EA64: D1FF0013 02062D78
	v_cndmask_b32_e64 v39, v19, v21, s[40:41]                  // 00000000EA6C: D1000027 00A22B13
	v_cmp_u_f32_e64 s[40:41], v121, v121                       // 00000000EA74: D0480028 0002F379
	v_add3_u32 v19, v121, v22, 1                               // 00000000EA7C: D1FF0013 02062D79
	v_cndmask_b32_e64 v40, v19, v21, s[40:41]                  // 00000000EA84: D1000028 00A22B13
	v_perm_b32 v116, v40, v39, s52                             // 00000000EA8C: D1ED0074 00D24F28
	v_cmp_u_f32_e64 s[40:41], v122, v122                       // 00000000EA94: D0480028 0002F57A
	v_add3_u32 v19, v122, v22, 1                               // 00000000EA9C: D1FF0013 02062D7A
	v_cndmask_b32_e64 v39, v19, v21, s[40:41]                  // 00000000EAA4: D1000027 00A22B13
	v_cmp_u_f32_e64 s[40:41], v123, v123                       // 00000000EAAC: D0480028 0002F77B
	v_add3_u32 v19, v123, v22, 1                               // 00000000EAB4: D1FF0013 02062D7B
	v_cndmask_b32_e64 v40, v19, v21, s[40:41]                  // 00000000EABC: D1000028 00A22B13
	v_perm_b32 v117, v40, v39, s52                             // 00000000EAC4: D1ED0075 00D24F28
	v_cmp_u_f32_e64 s[40:41], v124, v124                       // 00000000EACC: D0480028 0002F97C
	v_add3_u32 v19, v124, v22, 1                               // 00000000EAD4: D1FF0013 02062D7C
	v_cndmask_b32_e64 v39, v19, v21, s[40:41]                  // 00000000EADC: D1000027 00A22B13
	v_cmp_u_f32_e64 s[40:41], v125, v125                       // 00000000EAE4: D0480028 0002FB7D
	v_add3_u32 v19, v125, v22, 1                               // 00000000EAEC: D1FF0013 02062D7D
	v_cndmask_b32_e64 v40, v19, v21, s[40:41]                  // 00000000EAF4: D1000028 00A22B13
	v_perm_b32 v118, v40, v39, s52                             // 00000000EAFC: D1ED0076 00D24F28
	v_cmp_u_f32_e64 s[40:41], v126, v126                       // 00000000EB04: D0480028 0002FD7E
	v_add3_u32 v19, v126, v22, 1                               // 00000000EB0C: D1FF0013 02062D7E
	v_cndmask_b32_e64 v39, v19, v21, s[40:41]                  // 00000000EB14: D1000027 00A22B13
	v_cmp_u_f32_e64 s[40:41], v127, v127                       // 00000000EB1C: D0480028 0002FF7F
	v_add3_u32 v19, v127, v22, 1                               // 00000000EB24: D1FF0013 02062D7F
	v_cndmask_b32_e64 v40, v19, v21, s[40:41]                  // 00000000EB2C: D1000028 00A22B13
	v_perm_b32 v119, v40, v39, s52                             // 00000000EB34: D1ED0077 00D24F28
	ds_write_b64 v13, v[112:113] offset:4096                   // 00000000EB3C: D89A1000 0000700D
	ds_write_b64 v13, v[114:115] offset:6144                   // 00000000EB44: D89A1800 0000720D
	ds_write_b64 v13, v[116:117] offset:8192                   // 00000000EB4C: D89A2000 0000740D
	ds_write_b64 v13, v[118:119] offset:10240                  // 00000000EB54: D89A2800 0000760D
	s_waitcnt lgkmcnt(0)                                       // 00000000EB5C: BF8CC07F
	s_barrier                                                  // 00000000EB60: BF8A0000
	ds_read_b64 v[112:113], v12 offset:4096                    // 00000000EB64: D8EC1000 7000000C
	ds_read_b64 v[114:115], v12 offset:4224                    // 00000000EB6C: D8EC1080 7200000C
	ds_read_b64 v[116:117], v12 offset:5120                    // 00000000EB74: D8EC1400 7400000C
	ds_read_b64 v[118:119], v12 offset:5248                    // 00000000EB7C: D8EC1480 7600000C
	ds_read_b64 v[120:121], v12 offset:6144                    // 00000000EB84: D8EC1800 7800000C
	ds_read_b64 v[122:123], v12 offset:6272                    // 00000000EB8C: D8EC1880 7A00000C
	ds_read_b64 v[124:125], v12 offset:7168                    // 00000000EB94: D8EC1C00 7C00000C
	ds_read_b64 v[126:127], v12 offset:7296                    // 00000000EB9C: D8EC1C80 7E00000C
	ds_read_b64 v[128:129], v12 offset:8192                    // 00000000EBA4: D8EC2000 8000000C
	ds_read_b64 v[130:131], v12 offset:8320                    // 00000000EBAC: D8EC2080 8200000C
	ds_read_b64 v[132:133], v12 offset:9216                    // 00000000EBB4: D8EC2400 8400000C
	ds_read_b64 v[134:135], v12 offset:9344                    // 00000000EBBC: D8EC2480 8600000C
	ds_read_b64 v[136:137], v12 offset:10240                   // 00000000EBC4: D8EC2800 8800000C
	ds_read_b64 v[138:139], v12 offset:10368                   // 00000000EBCC: D8EC2880 8A00000C
	ds_read_b64 v[140:141], v12 offset:11264                   // 00000000EBD4: D8EC2C00 8C00000C
	ds_read_b64 v[142:143], v12 offset:11392                   // 00000000EBDC: D8EC2C80 8E00000C
	s_waitcnt lgkmcnt(0)                                       // 00000000EBE4: BF8CC07F
	s_nop 8                                                    // 00000000EBE8: BF800008
	v_mov_b32_e32 v50, v144                                    // 00000000EBEC: 7E640390
	v_max3_f32 v50, v144, v145, v50                            // 00000000EBF0: D1D30032 04CB2390
	v_max3_f32 v50, v146, v147, v50                            // 00000000EBF8: D1D30032 04CB2792
	v_max3_f32 v50, v148, v149, v50                            // 00000000EC00: D1D30032 04CB2B94
	v_max3_f32 v50, v150, v151, v50                            // 00000000EC08: D1D30032 04CB2F96
	v_max3_f32 v50, v152, v153, v50                            // 00000000EC10: D1D30032 04CB3398
	v_max3_f32 v50, v154, v155, v50                            // 00000000EC18: D1D30032 04CB379A
	v_max3_f32 v50, v156, v157, v50                            // 00000000EC20: D1D30032 04CB3B9C
	v_max3_f32 v50, v158, v159, v50                            // 00000000EC28: D1D30032 04CB3F9E
	ds_write_b32 v11, v50                                      // 00000000EC30: D81A0000 0000320B
	s_waitcnt lgkmcnt(0)                                       // 00000000EC38: BF8CC07F
	s_barrier                                                  // 00000000EC3C: BF8A0000
	ds_read_b32 v64, v10                                       // 00000000EC40: D86C0000 4000000A
	ds_read_b32 v65, v10 offset:64                             // 00000000EC48: D86C0040 4100000A
	ds_read_b32 v66, v10 offset:128                            // 00000000EC50: D86C0080 4200000A
	ds_read_b32 v67, v10 offset:192                            // 00000000EC58: D86C00C0 4300000A
	ds_read_b32 v68, v10 offset:256                            // 00000000EC60: D86C0100 4400000A
	ds_read_b32 v69, v10 offset:320                            // 00000000EC68: D86C0140 4500000A
	ds_read_b32 v70, v10 offset:384                            // 00000000EC70: D86C0180 4600000A
	ds_read_b32 v71, v10 offset:448                            // 00000000EC78: D86C01C0 4700000A
	ds_read_b32 v72, v10 offset:512                            // 00000000EC80: D86C0200 4800000A
	ds_read_b32 v73, v10 offset:576                            // 00000000EC88: D86C0240 4900000A
	ds_read_b32 v74, v10 offset:640                            // 00000000EC90: D86C0280 4A00000A
	ds_read_b32 v75, v10 offset:704                            // 00000000EC98: D86C02C0 4B00000A
	ds_read_b32 v76, v10 offset:768                            // 00000000ECA0: D86C0300 4C00000A
	ds_read_b32 v77, v10 offset:832                            // 00000000ECA8: D86C0340 4D00000A
	ds_read_b32 v78, v10 offset:896                            // 00000000ECB0: D86C0380 4E00000A
	ds_read_b32 v79, v10 offset:960                            // 00000000ECB8: D86C03C0 4F00000A
	s_waitcnt lgkmcnt(0)                                       // 00000000ECC0: BF8CC07F
	v_max3_f32 v50, v64, v65, v50                              // 00000000ECC4: D1D30032 04CA8340
	v_max3_f32 v50, v66, v67, v50                              // 00000000ECCC: D1D30032 04CA8742
	v_max3_f32 v50, v68, v69, v50                              // 00000000ECD4: D1D30032 04CA8B44
	v_max3_f32 v50, v70, v71, v50                              // 00000000ECDC: D1D30032 04CA8F46
	v_max3_f32 v50, v72, v73, v50                              // 00000000ECE4: D1D30032 04CA9348
	v_max3_f32 v50, v74, v75, v50                              // 00000000ECEC: D1D30032 04CA974A
	v_max3_f32 v50, v76, v77, v50                              // 00000000ECF4: D1D30032 04CA9B4C
	v_max3_f32 v50, v78, v79, v50                              // 00000000ECFC: D1D30032 04CA9F4E
	v_cmp_eq_u32_e64 s[40:41], v55, v15                        // 00000000ED04: D0CA0028 00021F37
	s_nop 1                                                    // 00000000ED0C: BF800001
	v_max_f32_e32 v16, v50, v15                                // 00000000ED10: 16201F32
	v_sub_f32_e32 v52, v15, v16                                // 00000000ED14: 0468210F
	v_cndmask_b32_e64 v52, v52, 0, s[40:41]                    // 00000000ED18: D1000034 00A10134
	v_mov_b32_e32 v15, v16                                     // 00000000ED20: 7E1E0310
	v_mul_f32_e32 v53, s64, v16                                // 00000000ED24: 0A6A2040
	v_mul_f32_e32 v52, s64, v52                                // 00000000ED28: 0A686840
	v_exp_f32_e32 v52, v52                                     // 00000000ED2C: 7E684134
	v_fma_f32 v144, v144, s64, -v53                            // 00000000ED30: D1CB0090 84D48190
	v_fma_f32 v145, v145, s64, -v53                            // 00000000ED38: D1CB0091 84D48191
	v_fma_f32 v146, v146, s64, -v53                            // 00000000ED40: D1CB0092 84D48192
	v_fma_f32 v147, v147, s64, -v53                            // 00000000ED48: D1CB0093 84D48193
	v_fma_f32 v148, v148, s64, -v53                            // 00000000ED50: D1CB0094 84D48194
	v_fma_f32 v149, v149, s64, -v53                            // 00000000ED58: D1CB0095 84D48195
	v_fma_f32 v150, v150, s64, -v53                            // 00000000ED60: D1CB0096 84D48196
	v_fma_f32 v151, v151, s64, -v53                            // 00000000ED68: D1CB0097 84D48197
	v_fma_f32 v152, v152, s64, -v53                            // 00000000ED70: D1CB0098 84D48198
	v_fma_f32 v153, v153, s64, -v53                            // 00000000ED78: D1CB0099 84D48199
	v_fma_f32 v154, v154, s64, -v53                            // 00000000ED80: D1CB009A 84D4819A
	v_fma_f32 v155, v155, s64, -v53                            // 00000000ED88: D1CB009B 84D4819B
	v_fma_f32 v156, v156, s64, -v53                            // 00000000ED90: D1CB009C 84D4819C
	v_fma_f32 v157, v157, s64, -v53                            // 00000000ED98: D1CB009D 84D4819D
	v_fma_f32 v158, v158, s64, -v53                            // 00000000EDA0: D1CB009E 84D4819E
	v_fma_f32 v159, v159, s64, -v53                            // 00000000EDA8: D1CB009F 84D4819F
	v_exp_f32_e32 v144, v144                                   // 00000000EDB0: 7F204190
	v_exp_f32_e32 v145, v145                                   // 00000000EDB4: 7F224191
	v_exp_f32_e32 v146, v146                                   // 00000000EDB8: 7F244192
	v_exp_f32_e32 v147, v147                                   // 00000000EDBC: 7F264193
	v_exp_f32_e32 v148, v148                                   // 00000000EDC0: 7F284194
	v_exp_f32_e32 v149, v149                                   // 00000000EDC4: 7F2A4195
	v_exp_f32_e32 v150, v150                                   // 00000000EDC8: 7F2C4196
	v_exp_f32_e32 v151, v151                                   // 00000000EDCC: 7F2E4197
	v_exp_f32_e32 v152, v152                                   // 00000000EDD0: 7F304198
	v_exp_f32_e32 v153, v153                                   // 00000000EDD4: 7F324199
	v_exp_f32_e32 v154, v154                                   // 00000000EDD8: 7F34419A
	v_exp_f32_e32 v155, v155                                   // 00000000EDDC: 7F36419B
	v_exp_f32_e32 v156, v156                                   // 00000000EDE0: 7F38419C
	v_exp_f32_e32 v157, v157                                   // 00000000EDE4: 7F3A419D
	v_exp_f32_e32 v158, v158                                   // 00000000EDE8: 7F3C419E
	v_exp_f32_e32 v159, v159                                   // 00000000EDEC: 7F3E419F
	v_mul_f32_e32 v44, v52, v44                                // 00000000EDF0: 0A585934
	v_mov_b32_e32 v45, v144                                    // 00000000EDF4: 7E5A0390
	v_add_f32_e32 v45, v145, v45                               // 00000000EDF8: 025A5B91
	v_add_f32_e32 v45, v146, v45                               // 00000000EDFC: 025A5B92
	v_add_f32_e32 v45, v147, v45                               // 00000000EE00: 025A5B93
	v_add_f32_e32 v45, v148, v45                               // 00000000EE04: 025A5B94
	v_add_f32_e32 v45, v149, v45                               // 00000000EE08: 025A5B95
	v_add_f32_e32 v45, v150, v45                               // 00000000EE0C: 025A5B96
	v_add_f32_e32 v45, v151, v45                               // 00000000EE10: 025A5B97
	v_add_f32_e32 v45, v152, v45                               // 00000000EE14: 025A5B98
	v_add_f32_e32 v45, v153, v45                               // 00000000EE18: 025A5B99
	v_add_f32_e32 v45, v154, v45                               // 00000000EE1C: 025A5B9A
	v_add_f32_e32 v45, v155, v45                               // 00000000EE20: 025A5B9B
	v_add_f32_e32 v45, v156, v45                               // 00000000EE24: 025A5B9C
	v_add_f32_e32 v45, v157, v45                               // 00000000EE28: 025A5B9D
	v_add_f32_e32 v45, v158, v45                               // 00000000EE2C: 025A5B9E
	v_add_f32_e32 v45, v159, v45                               // 00000000EE30: 025A5B9F
	v_add_f32_e32 v44, v45, v44                                // 00000000EE34: 0258592D
	v_cmp_u_f32_e64 s[40:41], v144, v144                       // 00000000EE38: D0480028 00032190
	v_add3_u32 v19, v144, v22, 1                               // 00000000EE40: D1FF0013 02062D90
	v_cndmask_b32_e64 v39, v19, v21, s[40:41]                  // 00000000EE48: D1000027 00A22B13
	v_cmp_u_f32_e64 s[40:41], v145, v145                       // 00000000EE50: D0480028 00032391
	v_add3_u32 v19, v145, v22, 1                               // 00000000EE58: D1FF0013 02062D91
	v_cndmask_b32_e64 v40, v19, v21, s[40:41]                  // 00000000EE60: D1000028 00A22B13
	v_perm_b32 v144, v40, v39, s52                             // 00000000EE68: D1ED0090 00D24F28
	v_cmp_u_f32_e64 s[40:41], v146, v146                       // 00000000EE70: D0480028 00032592
	v_add3_u32 v19, v146, v22, 1                               // 00000000EE78: D1FF0013 02062D92
	v_cndmask_b32_e64 v39, v19, v21, s[40:41]                  // 00000000EE80: D1000027 00A22B13
	v_cmp_u_f32_e64 s[40:41], v147, v147                       // 00000000EE88: D0480028 00032793
	v_add3_u32 v19, v147, v22, 1                               // 00000000EE90: D1FF0013 02062D93
	v_cndmask_b32_e64 v40, v19, v21, s[40:41]                  // 00000000EE98: D1000028 00A22B13
	v_perm_b32 v145, v40, v39, s52                             // 00000000EEA0: D1ED0091 00D24F28
	v_cmp_u_f32_e64 s[40:41], v148, v148                       // 00000000EEA8: D0480028 00032994
	v_add3_u32 v19, v148, v22, 1                               // 00000000EEB0: D1FF0013 02062D94
	v_cndmask_b32_e64 v39, v19, v21, s[40:41]                  // 00000000EEB8: D1000027 00A22B13
	v_cmp_u_f32_e64 s[40:41], v149, v149                       // 00000000EEC0: D0480028 00032B95
	v_add3_u32 v19, v149, v22, 1                               // 00000000EEC8: D1FF0013 02062D95
	v_cndmask_b32_e64 v40, v19, v21, s[40:41]                  // 00000000EED0: D1000028 00A22B13
	v_perm_b32 v146, v40, v39, s52                             // 00000000EED8: D1ED0092 00D24F28
	v_cmp_u_f32_e64 s[40:41], v150, v150                       // 00000000EEE0: D0480028 00032D96
	v_add3_u32 v19, v150, v22, 1                               // 00000000EEE8: D1FF0013 02062D96
	v_cndmask_b32_e64 v39, v19, v21, s[40:41]                  // 00000000EEF0: D1000027 00A22B13
	v_cmp_u_f32_e64 s[40:41], v151, v151                       // 00000000EEF8: D0480028 00032F97
	v_add3_u32 v19, v151, v22, 1                               // 00000000EF00: D1FF0013 02062D97
	v_cndmask_b32_e64 v40, v19, v21, s[40:41]                  // 00000000EF08: D1000028 00A22B13
	v_perm_b32 v147, v40, v39, s52                             // 00000000EF10: D1ED0093 00D24F28
	v_cmp_u_f32_e64 s[40:41], v152, v152                       // 00000000EF18: D0480028 00033198
	v_add3_u32 v19, v152, v22, 1                               // 00000000EF20: D1FF0013 02062D98
	v_cndmask_b32_e64 v39, v19, v21, s[40:41]                  // 00000000EF28: D1000027 00A22B13
	v_cmp_u_f32_e64 s[40:41], v153, v153                       // 00000000EF30: D0480028 00033399
	v_add3_u32 v19, v153, v22, 1                               // 00000000EF38: D1FF0013 02062D99
	v_cndmask_b32_e64 v40, v19, v21, s[40:41]                  // 00000000EF40: D1000028 00A22B13
	v_perm_b32 v148, v40, v39, s52                             // 00000000EF48: D1ED0094 00D24F28
	v_cmp_u_f32_e64 s[40:41], v154, v154                       // 00000000EF50: D0480028 0003359A
	v_add3_u32 v19, v154, v22, 1                               // 00000000EF58: D1FF0013 02062D9A
	v_cndmask_b32_e64 v39, v19, v21, s[40:41]                  // 00000000EF60: D1000027 00A22B13
	v_cmp_u_f32_e64 s[40:41], v155, v155                       // 00000000EF68: D0480028 0003379B
	v_add3_u32 v19, v155, v22, 1                               // 00000000EF70: D1FF0013 02062D9B
	v_cndmask_b32_e64 v40, v19, v21, s[40:41]                  // 00000000EF78: D1000028 00A22B13
	v_perm_b32 v149, v40, v39, s52                             // 00000000EF80: D1ED0095 00D24F28
	v_cmp_u_f32_e64 s[40:41], v156, v156                       // 00000000EF88: D0480028 0003399C
	v_add3_u32 v19, v156, v22, 1                               // 00000000EF90: D1FF0013 02062D9C
	v_cndmask_b32_e64 v39, v19, v21, s[40:41]                  // 00000000EF98: D1000027 00A22B13
	v_cmp_u_f32_e64 s[40:41], v157, v157                       // 00000000EFA0: D0480028 00033B9D
	v_add3_u32 v19, v157, v22, 1                               // 00000000EFA8: D1FF0013 02062D9D
	v_cndmask_b32_e64 v40, v19, v21, s[40:41]                  // 00000000EFB0: D1000028 00A22B13
	v_perm_b32 v150, v40, v39, s52                             // 00000000EFB8: D1ED0096 00D24F28
	v_cmp_u_f32_e64 s[40:41], v158, v158                       // 00000000EFC0: D0480028 00033D9E
	v_add3_u32 v19, v158, v22, 1                               // 00000000EFC8: D1FF0013 02062D9E
	v_cndmask_b32_e64 v39, v19, v21, s[40:41]                  // 00000000EFD0: D1000027 00A22B13
	v_cmp_u_f32_e64 s[40:41], v159, v159                       // 00000000EFD8: D0480028 00033F9F
	v_add3_u32 v19, v159, v22, 1                               // 00000000EFE0: D1FF0013 02062D9F
	v_cndmask_b32_e64 v40, v19, v21, s[40:41]                  // 00000000EFE8: D1000028 00A22B13
	v_perm_b32 v151, v40, v39, s52                             // 00000000EFF0: D1ED0097 00D24F28
	ds_write_b64 v13, v[144:145] offset:4096                   // 00000000EFF8: D89A1000 0000900D
	ds_write_b64 v13, v[146:147] offset:6144                   // 00000000F000: D89A1800 0000920D
	ds_write_b64 v13, v[148:149] offset:8192                   // 00000000F008: D89A2000 0000940D
	ds_write_b64 v13, v[150:151] offset:10240                  // 00000000F010: D89A2800 0000960D
	s_waitcnt lgkmcnt(0)                                       // 00000000F018: BF8CC07F
	s_barrier                                                  // 00000000F01C: BF8A0000
	ds_read_b64 v[144:145], v12 offset:4096                    // 00000000F020: D8EC1000 9000000C
	ds_read_b64 v[146:147], v12 offset:4224                    // 00000000F028: D8EC1080 9200000C
	ds_read_b64 v[148:149], v12 offset:5120                    // 00000000F030: D8EC1400 9400000C
	ds_read_b64 v[150:151], v12 offset:5248                    // 00000000F038: D8EC1480 9600000C
	ds_read_b64 v[152:153], v12 offset:6144                    // 00000000F040: D8EC1800 9800000C
	ds_read_b64 v[154:155], v12 offset:6272                    // 00000000F048: D8EC1880 9A00000C
	ds_read_b64 v[156:157], v12 offset:7168                    // 00000000F050: D8EC1C00 9C00000C
	ds_read_b64 v[158:159], v12 offset:7296                    // 00000000F058: D8EC1C80 9E00000C
	ds_read_b64 v[160:161], v12 offset:8192                    // 00000000F060: D8EC2000 A000000C
	ds_read_b64 v[162:163], v12 offset:8320                    // 00000000F068: D8EC2080 A200000C
	ds_read_b64 v[164:165], v12 offset:9216                    // 00000000F070: D8EC2400 A400000C
	ds_read_b64 v[166:167], v12 offset:9344                    // 00000000F078: D8EC2480 A600000C
	ds_read_b64 v[168:169], v12 offset:10240                   // 00000000F080: D8EC2800 A800000C
	ds_read_b64 v[170:171], v12 offset:10368                   // 00000000F088: D8EC2880 AA00000C
	ds_read_b64 v[172:173], v12 offset:11264                   // 00000000F090: D8EC2C00 AC00000C
	ds_read_b64 v[174:175], v12 offset:11392                   // 00000000F098: D8EC2C80 AE00000C
	s_waitcnt lgkmcnt(0)                                       // 00000000F0A0: BF8CC07F
	v_mul_f32_e32 v176, v51, v176                              // 00000000F0A4: 0B616133
	v_mul_f32_e32 v177, v51, v177                              // 00000000F0A8: 0B636333
	v_mul_f32_e32 v178, v51, v178                              // 00000000F0AC: 0B656533
	v_mul_f32_e32 v179, v51, v179                              // 00000000F0B0: 0B676733
	v_mul_f32_e32 v180, v51, v180                              // 00000000F0B4: 0B696933
	v_mul_f32_e32 v181, v51, v181                              // 00000000F0B8: 0B6B6B33
	v_mul_f32_e32 v182, v51, v182                              // 00000000F0BC: 0B6D6D33
	v_mul_f32_e32 v183, v51, v183                              // 00000000F0C0: 0B6F6F33
	v_mul_f32_e32 v184, v52, v184                              // 00000000F0C4: 0B717134
	v_mul_f32_e32 v185, v52, v185                              // 00000000F0C8: 0B737334
	v_mul_f32_e32 v186, v52, v186                              // 00000000F0CC: 0B757534
	v_mul_f32_e32 v187, v52, v187                              // 00000000F0D0: 0B777734
	v_mul_f32_e32 v188, v52, v188                              // 00000000F0D4: 0B797934
	v_mul_f32_e32 v189, v52, v189                              // 00000000F0D8: 0B7B7B34
	v_mul_f32_e32 v190, v52, v190                              // 00000000F0DC: 0B7D7D34
	v_mul_f32_e32 v191, v52, v191                              // 00000000F0E0: 0B7F7F34
	s_waitcnt vmcnt(0)                                         // 00000000F0E4: BF8C0F70
	s_barrier                                                  // 00000000F0E8: BF8A0000
	v_mfma_f32_16x16x16_bf16 v[176:179], a[128:129], v[112:113], v[176:179]// 00000000F0EC: D3E100B0 0EC2E180
	v_mfma_f32_16x16x16_bf16 v[176:179], a[130:131], v[114:115], v[176:179]// 00000000F0F4: D3E100B0 0EC2E582
	v_mfma_f32_16x16x16_bf16 v[176:179], a[132:133], v[116:117], v[176:179]// 00000000F0FC: D3E100B0 0EC2E984
	v_mfma_f32_16x16x16_bf16 v[176:179], a[134:135], v[118:119], v[176:179]// 00000000F104: D3E100B0 0EC2ED86
	v_mfma_f32_16x16x16_bf16 v[176:179], a[136:137], v[120:121], v[176:179]// 00000000F10C: D3E100B0 0EC2F188
	v_mfma_f32_16x16x16_bf16 v[176:179], a[138:139], v[122:123], v[176:179]// 00000000F114: D3E100B0 0EC2F58A
	v_mfma_f32_16x16x16_bf16 v[176:179], a[140:141], v[124:125], v[176:179]// 00000000F11C: D3E100B0 0EC2F98C
	v_mfma_f32_16x16x16_bf16 v[176:179], a[142:143], v[126:127], v[176:179]// 00000000F124: D3E100B0 0EC2FD8E
	v_mfma_f32_16x16x16_bf16 v[176:179], a[144:145], v[128:129], v[176:179]// 00000000F12C: D3E100B0 0EC30190
	v_mfma_f32_16x16x16_bf16 v[176:179], a[146:147], v[130:131], v[176:179]// 00000000F134: D3E100B0 0EC30592
	v_mfma_f32_16x16x16_bf16 v[176:179], a[148:149], v[132:133], v[176:179]// 00000000F13C: D3E100B0 0EC30994
	v_mfma_f32_16x16x16_bf16 v[176:179], a[150:151], v[134:135], v[176:179]// 00000000F144: D3E100B0 0EC30D96
	v_mfma_f32_16x16x16_bf16 v[176:179], a[152:153], v[136:137], v[176:179]// 00000000F14C: D3E100B0 0EC31198
	v_mfma_f32_16x16x16_bf16 v[176:179], a[154:155], v[138:139], v[176:179]// 00000000F154: D3E100B0 0EC3159A
	v_mfma_f32_16x16x16_bf16 v[176:179], a[156:157], v[140:141], v[176:179]// 00000000F15C: D3E100B0 0EC3199C
	v_mfma_f32_16x16x16_bf16 v[176:179], a[158:159], v[142:143], v[176:179]// 00000000F164: D3E100B0 0EC31D9E
	v_mfma_f32_16x16x16_bf16 v[180:183], a[160:161], v[112:113], v[180:183]// 00000000F16C: D3E100B4 0ED2E1A0
	v_mfma_f32_16x16x16_bf16 v[180:183], a[162:163], v[114:115], v[180:183]// 00000000F174: D3E100B4 0ED2E5A2
	v_mfma_f32_16x16x16_bf16 v[180:183], a[164:165], v[116:117], v[180:183]// 00000000F17C: D3E100B4 0ED2E9A4
	v_mfma_f32_16x16x16_bf16 v[180:183], a[166:167], v[118:119], v[180:183]// 00000000F184: D3E100B4 0ED2EDA6
	v_mfma_f32_16x16x16_bf16 v[180:183], a[168:169], v[120:121], v[180:183]// 00000000F18C: D3E100B4 0ED2F1A8
	v_mfma_f32_16x16x16_bf16 v[180:183], a[170:171], v[122:123], v[180:183]// 00000000F194: D3E100B4 0ED2F5AA
	v_mfma_f32_16x16x16_bf16 v[180:183], a[172:173], v[124:125], v[180:183]// 00000000F19C: D3E100B4 0ED2F9AC
	v_mfma_f32_16x16x16_bf16 v[180:183], a[174:175], v[126:127], v[180:183]// 00000000F1A4: D3E100B4 0ED2FDAE
	v_mfma_f32_16x16x16_bf16 v[180:183], a[176:177], v[128:129], v[180:183]// 00000000F1AC: D3E100B4 0ED301B0
	v_mfma_f32_16x16x16_bf16 v[180:183], a[178:179], v[130:131], v[180:183]// 00000000F1B4: D3E100B4 0ED305B2
	v_mfma_f32_16x16x16_bf16 v[180:183], a[180:181], v[132:133], v[180:183]// 00000000F1BC: D3E100B4 0ED309B4
	v_mfma_f32_16x16x16_bf16 v[180:183], a[182:183], v[134:135], v[180:183]// 00000000F1C4: D3E100B4 0ED30DB6
	v_mfma_f32_16x16x16_bf16 v[180:183], a[184:185], v[136:137], v[180:183]// 00000000F1CC: D3E100B4 0ED311B8
	v_mfma_f32_16x16x16_bf16 v[180:183], a[186:187], v[138:139], v[180:183]// 00000000F1D4: D3E100B4 0ED315BA
	v_mfma_f32_16x16x16_bf16 v[180:183], a[188:189], v[140:141], v[180:183]// 00000000F1DC: D3E100B4 0ED319BC
	v_mfma_f32_16x16x16_bf16 v[180:183], a[190:191], v[142:143], v[180:183]// 00000000F1E4: D3E100B4 0ED31DBE
	v_mfma_f32_16x16x16_bf16 v[184:187], a[128:129], v[144:145], v[184:187]// 00000000F1EC: D3E100B8 0EE32180
	v_mfma_f32_16x16x16_bf16 v[184:187], a[130:131], v[146:147], v[184:187]// 00000000F1F4: D3E100B8 0EE32582
	v_mfma_f32_16x16x16_bf16 v[184:187], a[132:133], v[148:149], v[184:187]// 00000000F1FC: D3E100B8 0EE32984
	v_mfma_f32_16x16x16_bf16 v[184:187], a[134:135], v[150:151], v[184:187]// 00000000F204: D3E100B8 0EE32D86
	v_mfma_f32_16x16x16_bf16 v[184:187], a[136:137], v[152:153], v[184:187]// 00000000F20C: D3E100B8 0EE33188
	v_mfma_f32_16x16x16_bf16 v[184:187], a[138:139], v[154:155], v[184:187]// 00000000F214: D3E100B8 0EE3358A
	v_mfma_f32_16x16x16_bf16 v[184:187], a[140:141], v[156:157], v[184:187]// 00000000F21C: D3E100B8 0EE3398C
	v_mfma_f32_16x16x16_bf16 v[184:187], a[142:143], v[158:159], v[184:187]// 00000000F224: D3E100B8 0EE33D8E
	v_mfma_f32_16x16x16_bf16 v[184:187], a[144:145], v[160:161], v[184:187]// 00000000F22C: D3E100B8 0EE34190
	v_mfma_f32_16x16x16_bf16 v[184:187], a[146:147], v[162:163], v[184:187]// 00000000F234: D3E100B8 0EE34592
	v_mfma_f32_16x16x16_bf16 v[184:187], a[148:149], v[164:165], v[184:187]// 00000000F23C: D3E100B8 0EE34994
	v_mfma_f32_16x16x16_bf16 v[184:187], a[150:151], v[166:167], v[184:187]// 00000000F244: D3E100B8 0EE34D96
	v_mfma_f32_16x16x16_bf16 v[184:187], a[152:153], v[168:169], v[184:187]// 00000000F24C: D3E100B8 0EE35198
	v_mfma_f32_16x16x16_bf16 v[184:187], a[154:155], v[170:171], v[184:187]// 00000000F254: D3E100B8 0EE3559A
	v_mfma_f32_16x16x16_bf16 v[184:187], a[156:157], v[172:173], v[184:187]// 00000000F25C: D3E100B8 0EE3599C
	v_mfma_f32_16x16x16_bf16 v[184:187], a[158:159], v[174:175], v[184:187]// 00000000F264: D3E100B8 0EE35D9E
	v_mfma_f32_16x16x16_bf16 v[188:191], a[160:161], v[144:145], v[188:191]// 00000000F26C: D3E100BC 0EF321A0
	v_mfma_f32_16x16x16_bf16 v[188:191], a[162:163], v[146:147], v[188:191]// 00000000F274: D3E100BC 0EF325A2
	v_mfma_f32_16x16x16_bf16 v[188:191], a[164:165], v[148:149], v[188:191]// 00000000F27C: D3E100BC 0EF329A4
	v_mfma_f32_16x16x16_bf16 v[188:191], a[166:167], v[150:151], v[188:191]// 00000000F284: D3E100BC 0EF32DA6
	v_mfma_f32_16x16x16_bf16 v[188:191], a[168:169], v[152:153], v[188:191]// 00000000F28C: D3E100BC 0EF331A8
	v_mfma_f32_16x16x16_bf16 v[188:191], a[170:171], v[154:155], v[188:191]// 00000000F294: D3E100BC 0EF335AA
	v_mfma_f32_16x16x16_bf16 v[188:191], a[172:173], v[156:157], v[188:191]// 00000000F29C: D3E100BC 0EF339AC
	v_mfma_f32_16x16x16_bf16 v[188:191], a[174:175], v[158:159], v[188:191]// 00000000F2A4: D3E100BC 0EF33DAE
	v_mfma_f32_16x16x16_bf16 v[188:191], a[176:177], v[160:161], v[188:191]// 00000000F2AC: D3E100BC 0EF341B0
	v_mfma_f32_16x16x16_bf16 v[188:191], a[178:179], v[162:163], v[188:191]// 00000000F2B4: D3E100BC 0EF345B2
	v_mfma_f32_16x16x16_bf16 v[188:191], a[180:181], v[164:165], v[188:191]// 00000000F2BC: D3E100BC 0EF349B4
	v_mfma_f32_16x16x16_bf16 v[188:191], a[182:183], v[166:167], v[188:191]// 00000000F2C4: D3E100BC 0EF34DB6
	v_mfma_f32_16x16x16_bf16 v[188:191], a[184:185], v[168:169], v[188:191]// 00000000F2CC: D3E100BC 0EF351B8
	v_mfma_f32_16x16x16_bf16 v[188:191], a[186:187], v[170:171], v[188:191]// 00000000F2D4: D3E100BC 0EF355BA
	v_mfma_f32_16x16x16_bf16 v[188:191], a[188:189], v[172:173], v[188:191]// 00000000F2DC: D3E100BC 0EF359BC
	v_mfma_f32_16x16x16_bf16 v[188:191], a[190:191], v[174:175], v[188:191]// 00000000F2E4: D3E100BC 0EF35DBE
	s_nop 8                                                    // 00000000F2EC: BF800008
	s_branch label_3889                                        // 00000000F2F0: BF82044B

000000000000f2f4 <label_343E>:
	s_waitcnt vmcnt(16) lgkmcnt(0)                             // 00000000F2F4: BF8C4070
	s_barrier                                                  // 00000000F2F8: BF8A0000
	v_mfma_f32_16x16x16_bf16 v[112:115], a[64:65], v[80:81], 0 // 00000000F2FC: D3E10070 0A02A140
	v_mfma_f32_16x16x16_bf16 v[112:115], a[66:67], v[82:83], v[112:115]// 00000000F304: D3E10070 0DC2A542
	v_mfma_f32_16x16x16_bf16 v[112:115], a[68:69], v[84:85], v[112:115]// 00000000F30C: D3E10070 0DC2A944
	v_mfma_f32_16x16x16_bf16 v[112:115], a[70:71], v[86:87], v[112:115]// 00000000F314: D3E10070 0DC2AD46
	v_mfma_f32_16x16x16_bf16 v[112:115], a[72:73], v[88:89], v[112:115]// 00000000F31C: D3E10070 0DC2B148
	v_mfma_f32_16x16x16_bf16 v[112:115], a[74:75], v[90:91], v[112:115]// 00000000F324: D3E10070 0DC2B54A
	v_mfma_f32_16x16x16_bf16 v[112:115], a[76:77], v[92:93], v[112:115]// 00000000F32C: D3E10070 0DC2B94C
	v_mfma_f32_16x16x16_bf16 v[112:115], a[78:79], v[94:95], v[112:115]// 00000000F334: D3E10070 0DC2BD4E
	v_mfma_f32_16x16x16_bf16 v[116:119], a[80:81], v[80:81], 0 // 00000000F33C: D3E10074 0A02A150
	v_mfma_f32_16x16x16_bf16 v[116:119], a[82:83], v[82:83], v[116:119]// 00000000F344: D3E10074 0DD2A552
	v_mfma_f32_16x16x16_bf16 v[116:119], a[84:85], v[84:85], v[116:119]// 00000000F34C: D3E10074 0DD2A954
	v_mfma_f32_16x16x16_bf16 v[116:119], a[86:87], v[86:87], v[116:119]// 00000000F354: D3E10074 0DD2AD56
	v_mfma_f32_16x16x16_bf16 v[116:119], a[88:89], v[88:89], v[116:119]// 00000000F35C: D3E10074 0DD2B158
	v_mfma_f32_16x16x16_bf16 v[116:119], a[90:91], v[90:91], v[116:119]// 00000000F364: D3E10074 0DD2B55A
	v_mfma_f32_16x16x16_bf16 v[116:119], a[92:93], v[92:93], v[116:119]// 00000000F36C: D3E10074 0DD2B95C
	v_mfma_f32_16x16x16_bf16 v[116:119], a[94:95], v[94:95], v[116:119]// 00000000F374: D3E10074 0DD2BD5E
	v_mfma_f32_16x16x16_bf16 v[120:123], a[96:97], v[80:81], 0 // 00000000F37C: D3E10078 0A02A160
	v_mfma_f32_16x16x16_bf16 v[120:123], a[98:99], v[82:83], v[120:123]// 00000000F384: D3E10078 0DE2A562
	v_mfma_f32_16x16x16_bf16 v[120:123], a[100:101], v[84:85], v[120:123]// 00000000F38C: D3E10078 0DE2A964
	v_mfma_f32_16x16x16_bf16 v[120:123], a[102:103], v[86:87], v[120:123]// 00000000F394: D3E10078 0DE2AD66
	v_mfma_f32_16x16x16_bf16 v[120:123], a[104:105], v[88:89], v[120:123]// 00000000F39C: D3E10078 0DE2B168
	v_mfma_f32_16x16x16_bf16 v[120:123], a[106:107], v[90:91], v[120:123]// 00000000F3A4: D3E10078 0DE2B56A
	v_mfma_f32_16x16x16_bf16 v[120:123], a[108:109], v[92:93], v[120:123]// 00000000F3AC: D3E10078 0DE2B96C
	v_mfma_f32_16x16x16_bf16 v[120:123], a[110:111], v[94:95], v[120:123]// 00000000F3B4: D3E10078 0DE2BD6E
	v_mfma_f32_16x16x16_bf16 v[124:127], a[112:113], v[80:81], 0// 00000000F3BC: D3E1007C 0A02A170
	v_mfma_f32_16x16x16_bf16 v[124:127], a[114:115], v[82:83], v[124:127]// 00000000F3C4: D3E1007C 0DF2A572
	v_mfma_f32_16x16x16_bf16 v[124:127], a[116:117], v[84:85], v[124:127]// 00000000F3CC: D3E1007C 0DF2A974
	v_mfma_f32_16x16x16_bf16 v[124:127], a[118:119], v[86:87], v[124:127]// 00000000F3D4: D3E1007C 0DF2AD76
	v_mfma_f32_16x16x16_bf16 v[124:127], a[120:121], v[88:89], v[124:127]// 00000000F3DC: D3E1007C 0DF2B178
	v_mfma_f32_16x16x16_bf16 v[124:127], a[122:123], v[90:91], v[124:127]// 00000000F3E4: D3E1007C 0DF2B57A
	v_mfma_f32_16x16x16_bf16 v[124:127], a[124:125], v[92:93], v[124:127]// 00000000F3EC: D3E1007C 0DF2B97C
	v_mfma_f32_16x16x16_bf16 v[124:127], a[126:127], v[94:95], v[124:127]// 00000000F3F4: D3E1007C 0DF2BD7E
	v_mfma_f32_16x16x16_bf16 v[144:147], a[64:65], v[96:97], 0 // 00000000F3FC: D3E10090 0A02C140
	v_mfma_f32_16x16x16_bf16 v[144:147], a[66:67], v[98:99], v[144:147]// 00000000F404: D3E10090 0E42C542
	v_mfma_f32_16x16x16_bf16 v[144:147], a[68:69], v[100:101], v[144:147]// 00000000F40C: D3E10090 0E42C944
	v_mfma_f32_16x16x16_bf16 v[144:147], a[70:71], v[102:103], v[144:147]// 00000000F414: D3E10090 0E42CD46
	v_mfma_f32_16x16x16_bf16 v[144:147], a[72:73], v[104:105], v[144:147]// 00000000F41C: D3E10090 0E42D148
	v_mfma_f32_16x16x16_bf16 v[144:147], a[74:75], v[106:107], v[144:147]// 00000000F424: D3E10090 0E42D54A
	v_mfma_f32_16x16x16_bf16 v[144:147], a[76:77], v[108:109], v[144:147]// 00000000F42C: D3E10090 0E42D94C
	v_mfma_f32_16x16x16_bf16 v[144:147], a[78:79], v[110:111], v[144:147]// 00000000F434: D3E10090 0E42DD4E
	v_mfma_f32_16x16x16_bf16 v[148:151], a[80:81], v[96:97], 0 // 00000000F43C: D3E10094 0A02C150
	v_mfma_f32_16x16x16_bf16 v[148:151], a[82:83], v[98:99], v[148:151]// 00000000F444: D3E10094 0E52C552
	v_mfma_f32_16x16x16_bf16 v[148:151], a[84:85], v[100:101], v[148:151]// 00000000F44C: D3E10094 0E52C954
	v_mfma_f32_16x16x16_bf16 v[148:151], a[86:87], v[102:103], v[148:151]// 00000000F454: D3E10094 0E52CD56
	v_mfma_f32_16x16x16_bf16 v[148:151], a[88:89], v[104:105], v[148:151]// 00000000F45C: D3E10094 0E52D158
	v_mfma_f32_16x16x16_bf16 v[148:151], a[90:91], v[106:107], v[148:151]// 00000000F464: D3E10094 0E52D55A
	v_mfma_f32_16x16x16_bf16 v[148:151], a[92:93], v[108:109], v[148:151]// 00000000F46C: D3E10094 0E52D95C
	v_mfma_f32_16x16x16_bf16 v[148:151], a[94:95], v[110:111], v[148:151]// 00000000F474: D3E10094 0E52DD5E
	v_mfma_f32_16x16x16_bf16 v[152:155], a[96:97], v[96:97], 0 // 00000000F47C: D3E10098 0A02C160
	v_mfma_f32_16x16x16_bf16 v[152:155], a[98:99], v[98:99], v[152:155]// 00000000F484: D3E10098 0E62C562
	v_mfma_f32_16x16x16_bf16 v[152:155], a[100:101], v[100:101], v[152:155]// 00000000F48C: D3E10098 0E62C964
	v_mfma_f32_16x16x16_bf16 v[152:155], a[102:103], v[102:103], v[152:155]// 00000000F494: D3E10098 0E62CD66
	v_mfma_f32_16x16x16_bf16 v[152:155], a[104:105], v[104:105], v[152:155]// 00000000F49C: D3E10098 0E62D168
	v_mfma_f32_16x16x16_bf16 v[152:155], a[106:107], v[106:107], v[152:155]// 00000000F4A4: D3E10098 0E62D56A
	v_mfma_f32_16x16x16_bf16 v[152:155], a[108:109], v[108:109], v[152:155]// 00000000F4AC: D3E10098 0E62D96C
	v_mfma_f32_16x16x16_bf16 v[152:155], a[110:111], v[110:111], v[152:155]// 00000000F4B4: D3E10098 0E62DD6E
	v_mfma_f32_16x16x16_bf16 v[156:159], a[112:113], v[96:97], 0// 00000000F4BC: D3E1009C 0A02C170
	v_mfma_f32_16x16x16_bf16 v[156:159], a[114:115], v[98:99], v[156:159]// 00000000F4C4: D3E1009C 0E72C572
	v_mfma_f32_16x16x16_bf16 v[156:159], a[116:117], v[100:101], v[156:159]// 00000000F4CC: D3E1009C 0E72C974
	v_mfma_f32_16x16x16_bf16 v[156:159], a[118:119], v[102:103], v[156:159]// 00000000F4D4: D3E1009C 0E72CD76
	v_mfma_f32_16x16x16_bf16 v[156:159], a[120:121], v[104:105], v[156:159]// 00000000F4DC: D3E1009C 0E72D178
	v_mfma_f32_16x16x16_bf16 v[156:159], a[122:123], v[106:107], v[156:159]// 00000000F4E4: D3E1009C 0E72D57A
	v_mfma_f32_16x16x16_bf16 v[156:159], a[124:125], v[108:109], v[156:159]// 00000000F4EC: D3E1009C 0E72D97C
	v_mfma_f32_16x16x16_bf16 v[156:159], a[126:127], v[110:111], v[156:159]// 00000000F4F4: D3E1009C 0E72DD7E
	s_nop 8                                                    // 00000000F4FC: BF800008
	s_and_b32 s60, s72, 0xff                                   // 00000000F500: 863CFF48 000000FF
	v_mov_b32_e32 v56, s60                                     // 00000000F508: 7E70023C
	v_lshrrev_b32_e32 v31, 4, v0                               // 00000000F50C: 203E0084
	v_mul_i32_i24_e32 v31, 4, v31                              // 00000000F510: 0C3E3E84
	s_mul_i32 s60, s7, 16                                      // 00000000F514: 923C9007
	v_add_u32_e32 v31, s60, v31                                // 00000000F518: 683E3E3C
	v_add_u32_e32 v32, 1, v31                                  // 00000000F51C: 68403E81
	v_add_u32_e32 v33, 2, v31                                  // 00000000F520: 68423E82
	v_add_u32_e32 v34, 3, v31                                  // 00000000F524: 68443E83
	v_mov_b32_e32 v39, v55                                     // 00000000F528: 7E4E0337
	v_cmp_lt_u32_e64 s[40:41], v31, v56                        // 00000000F52C: D0C90028 0002711F
	v_add_u32_e32 v31, 64, v31                                 // 00000000F534: 683E3EC0
	s_nop 0                                                    // 00000000F538: BF800000
	v_cndmask_b32_e64 v112, v39, v112, s[40:41]                // 00000000F53C: D1000070 00A2E127
	v_cmp_lt_u32_e64 s[40:41], v32, v56                        // 00000000F544: D0C90028 00027120
	v_add_u32_e32 v32, 64, v32                                 // 00000000F54C: 684040C0
	s_nop 0                                                    // 00000000F550: BF800000
	v_cndmask_b32_e64 v113, v39, v113, s[40:41]                // 00000000F554: D1000071 00A2E327
	v_cmp_lt_u32_e64 s[40:41], v33, v56                        // 00000000F55C: D0C90028 00027121
	v_add_u32_e32 v33, 64, v33                                 // 00000000F564: 684242C0
	s_nop 0                                                    // 00000000F568: BF800000
	v_cndmask_b32_e64 v114, v39, v114, s[40:41]                // 00000000F56C: D1000072 00A2E527
	v_cmp_lt_u32_e64 s[40:41], v34, v56                        // 00000000F574: D0C90028 00027122
	v_add_u32_e32 v34, 64, v34                                 // 00000000F57C: 684444C0
	s_nop 0                                                    // 00000000F580: BF800000
	v_cndmask_b32_e64 v115, v39, v115, s[40:41]                // 00000000F584: D1000073 00A2E727
	v_cmp_lt_u32_e64 s[40:41], v31, v56                        // 00000000F58C: D0C90028 0002711F
	v_add_u32_e32 v31, 64, v31                                 // 00000000F594: 683E3EC0
	s_nop 0                                                    // 00000000F598: BF800000
	v_cndmask_b32_e64 v116, v39, v116, s[40:41]                // 00000000F59C: D1000074 00A2E927
	v_cmp_lt_u32_e64 s[40:41], v32, v56                        // 00000000F5A4: D0C90028 00027120
	v_add_u32_e32 v32, 64, v32                                 // 00000000F5AC: 684040C0
	s_nop 0                                                    // 00000000F5B0: BF800000
	v_cndmask_b32_e64 v117, v39, v117, s[40:41]                // 00000000F5B4: D1000075 00A2EB27
	v_cmp_lt_u32_e64 s[40:41], v33, v56                        // 00000000F5BC: D0C90028 00027121
	v_add_u32_e32 v33, 64, v33                                 // 00000000F5C4: 684242C0
	s_nop 0                                                    // 00000000F5C8: BF800000
	v_cndmask_b32_e64 v118, v39, v118, s[40:41]                // 00000000F5CC: D1000076 00A2ED27
	v_cmp_lt_u32_e64 s[40:41], v34, v56                        // 00000000F5D4: D0C90028 00027122
	v_add_u32_e32 v34, 64, v34                                 // 00000000F5DC: 684444C0
	s_nop 0                                                    // 00000000F5E0: BF800000
	v_cndmask_b32_e64 v119, v39, v119, s[40:41]                // 00000000F5E4: D1000077 00A2EF27
	v_cmp_lt_u32_e64 s[40:41], v31, v56                        // 00000000F5EC: D0C90028 0002711F
	v_add_u32_e32 v31, 64, v31                                 // 00000000F5F4: 683E3EC0
	s_nop 0                                                    // 00000000F5F8: BF800000
	v_cndmask_b32_e64 v120, v39, v120, s[40:41]                // 00000000F5FC: D1000078 00A2F127
	v_cmp_lt_u32_e64 s[40:41], v32, v56                        // 00000000F604: D0C90028 00027120
	v_add_u32_e32 v32, 64, v32                                 // 00000000F60C: 684040C0
	s_nop 0                                                    // 00000000F610: BF800000
	v_cndmask_b32_e64 v121, v39, v121, s[40:41]                // 00000000F614: D1000079 00A2F327
	v_cmp_lt_u32_e64 s[40:41], v33, v56                        // 00000000F61C: D0C90028 00027121
	v_add_u32_e32 v33, 64, v33                                 // 00000000F624: 684242C0
	s_nop 0                                                    // 00000000F628: BF800000
	v_cndmask_b32_e64 v122, v39, v122, s[40:41]                // 00000000F62C: D100007A 00A2F527
	v_cmp_lt_u32_e64 s[40:41], v34, v56                        // 00000000F634: D0C90028 00027122
	v_add_u32_e32 v34, 64, v34                                 // 00000000F63C: 684444C0
	s_nop 0                                                    // 00000000F640: BF800000
	v_cndmask_b32_e64 v123, v39, v123, s[40:41]                // 00000000F644: D100007B 00A2F727
	v_cmp_lt_u32_e64 s[40:41], v31, v56                        // 00000000F64C: D0C90028 0002711F
	v_add_u32_e32 v31, 64, v31                                 // 00000000F654: 683E3EC0
	s_nop 0                                                    // 00000000F658: BF800000
	v_cndmask_b32_e64 v124, v39, v124, s[40:41]                // 00000000F65C: D100007C 00A2F927
	v_cmp_lt_u32_e64 s[40:41], v32, v56                        // 00000000F664: D0C90028 00027120
	v_add_u32_e32 v32, 64, v32                                 // 00000000F66C: 684040C0
	s_nop 0                                                    // 00000000F670: BF800000
	v_cndmask_b32_e64 v125, v39, v125, s[40:41]                // 00000000F674: D100007D 00A2FB27
	v_cmp_lt_u32_e64 s[40:41], v33, v56                        // 00000000F67C: D0C90028 00027121
	v_add_u32_e32 v33, 64, v33                                 // 00000000F684: 684242C0
	s_nop 0                                                    // 00000000F688: BF800000
	v_cndmask_b32_e64 v126, v39, v126, s[40:41]                // 00000000F68C: D100007E 00A2FD27
	v_cmp_lt_u32_e64 s[40:41], v34, v56                        // 00000000F694: D0C90028 00027122
	v_add_u32_e32 v34, 64, v34                                 // 00000000F69C: 684444C0
	s_nop 0                                                    // 00000000F6A0: BF800000
	v_cndmask_b32_e64 v127, v39, v127, s[40:41]                // 00000000F6A4: D100007F 00A2FF27
	s_and_b32 s60, s72, 0xff                                   // 00000000F6AC: 863CFF48 000000FF
	v_mov_b32_e32 v56, s60                                     // 00000000F6B4: 7E70023C
	v_lshrrev_b32_e32 v31, 4, v0                               // 00000000F6B8: 203E0084
	v_mul_i32_i24_e32 v31, 4, v31                              // 00000000F6BC: 0C3E3E84
	s_mul_i32 s60, s7, 16                                      // 00000000F6C0: 923C9007
	v_add_u32_e32 v31, s60, v31                                // 00000000F6C4: 683E3E3C
	v_add_u32_e32 v32, 1, v31                                  // 00000000F6C8: 68403E81
	v_add_u32_e32 v33, 2, v31                                  // 00000000F6CC: 68423E82
	v_add_u32_e32 v34, 3, v31                                  // 00000000F6D0: 68443E83
	v_mov_b32_e32 v39, v55                                     // 00000000F6D4: 7E4E0337
	v_cmp_lt_u32_e64 s[40:41], v31, v56                        // 00000000F6D8: D0C90028 0002711F
	v_add_u32_e32 v31, 64, v31                                 // 00000000F6E0: 683E3EC0
	s_nop 0                                                    // 00000000F6E4: BF800000
	v_cndmask_b32_e64 v144, v39, v144, s[40:41]                // 00000000F6E8: D1000090 00A32127
	v_cmp_lt_u32_e64 s[40:41], v32, v56                        // 00000000F6F0: D0C90028 00027120
	v_add_u32_e32 v32, 64, v32                                 // 00000000F6F8: 684040C0
	s_nop 0                                                    // 00000000F6FC: BF800000
	v_cndmask_b32_e64 v145, v39, v145, s[40:41]                // 00000000F700: D1000091 00A32327
	v_cmp_lt_u32_e64 s[40:41], v33, v56                        // 00000000F708: D0C90028 00027121
	v_add_u32_e32 v33, 64, v33                                 // 00000000F710: 684242C0
	s_nop 0                                                    // 00000000F714: BF800000
	v_cndmask_b32_e64 v146, v39, v146, s[40:41]                // 00000000F718: D1000092 00A32527
	v_cmp_lt_u32_e64 s[40:41], v34, v56                        // 00000000F720: D0C90028 00027122
	v_add_u32_e32 v34, 64, v34                                 // 00000000F728: 684444C0
	s_nop 0                                                    // 00000000F72C: BF800000
	v_cndmask_b32_e64 v147, v39, v147, s[40:41]                // 00000000F730: D1000093 00A32727
	v_cmp_lt_u32_e64 s[40:41], v31, v56                        // 00000000F738: D0C90028 0002711F
	v_add_u32_e32 v31, 64, v31                                 // 00000000F740: 683E3EC0
	s_nop 0                                                    // 00000000F744: BF800000
	v_cndmask_b32_e64 v148, v39, v148, s[40:41]                // 00000000F748: D1000094 00A32927
	v_cmp_lt_u32_e64 s[40:41], v32, v56                        // 00000000F750: D0C90028 00027120
	v_add_u32_e32 v32, 64, v32                                 // 00000000F758: 684040C0
	s_nop 0                                                    // 00000000F75C: BF800000
	v_cndmask_b32_e64 v149, v39, v149, s[40:41]                // 00000000F760: D1000095 00A32B27
	v_cmp_lt_u32_e64 s[40:41], v33, v56                        // 00000000F768: D0C90028 00027121
	v_add_u32_e32 v33, 64, v33                                 // 00000000F770: 684242C0
	s_nop 0                                                    // 00000000F774: BF800000
	v_cndmask_b32_e64 v150, v39, v150, s[40:41]                // 00000000F778: D1000096 00A32D27
	v_cmp_lt_u32_e64 s[40:41], v34, v56                        // 00000000F780: D0C90028 00027122
	v_add_u32_e32 v34, 64, v34                                 // 00000000F788: 684444C0
	s_nop 0                                                    // 00000000F78C: BF800000
	v_cndmask_b32_e64 v151, v39, v151, s[40:41]                // 00000000F790: D1000097 00A32F27
	v_cmp_lt_u32_e64 s[40:41], v31, v56                        // 00000000F798: D0C90028 0002711F
	v_add_u32_e32 v31, 64, v31                                 // 00000000F7A0: 683E3EC0
	s_nop 0                                                    // 00000000F7A4: BF800000
	v_cndmask_b32_e64 v152, v39, v152, s[40:41]                // 00000000F7A8: D1000098 00A33127
	v_cmp_lt_u32_e64 s[40:41], v32, v56                        // 00000000F7B0: D0C90028 00027120
	v_add_u32_e32 v32, 64, v32                                 // 00000000F7B8: 684040C0
	s_nop 0                                                    // 00000000F7BC: BF800000
	v_cndmask_b32_e64 v153, v39, v153, s[40:41]                // 00000000F7C0: D1000099 00A33327
	v_cmp_lt_u32_e64 s[40:41], v33, v56                        // 00000000F7C8: D0C90028 00027121
	v_add_u32_e32 v33, 64, v33                                 // 00000000F7D0: 684242C0
	s_nop 0                                                    // 00000000F7D4: BF800000
	v_cndmask_b32_e64 v154, v39, v154, s[40:41]                // 00000000F7D8: D100009A 00A33527
	v_cmp_lt_u32_e64 s[40:41], v34, v56                        // 00000000F7E0: D0C90028 00027122
	v_add_u32_e32 v34, 64, v34                                 // 00000000F7E8: 684444C0
	s_nop 0                                                    // 00000000F7EC: BF800000
	v_cndmask_b32_e64 v155, v39, v155, s[40:41]                // 00000000F7F0: D100009B 00A33727
	v_cmp_lt_u32_e64 s[40:41], v31, v56                        // 00000000F7F8: D0C90028 0002711F
	v_add_u32_e32 v31, 64, v31                                 // 00000000F800: 683E3EC0
	s_nop 0                                                    // 00000000F804: BF800000
	v_cndmask_b32_e64 v156, v39, v156, s[40:41]                // 00000000F808: D100009C 00A33927
	v_cmp_lt_u32_e64 s[40:41], v32, v56                        // 00000000F810: D0C90028 00027120
	v_add_u32_e32 v32, 64, v32                                 // 00000000F818: 684040C0
	s_nop 0                                                    // 00000000F81C: BF800000
	v_cndmask_b32_e64 v157, v39, v157, s[40:41]                // 00000000F820: D100009D 00A33B27
	v_cmp_lt_u32_e64 s[40:41], v33, v56                        // 00000000F828: D0C90028 00027121
	v_add_u32_e32 v33, 64, v33                                 // 00000000F830: 684242C0
	s_nop 0                                                    // 00000000F834: BF800000
	v_cndmask_b32_e64 v158, v39, v158, s[40:41]                // 00000000F838: D100009E 00A33D27
	v_cmp_lt_u32_e64 s[40:41], v34, v56                        // 00000000F840: D0C90028 00027122
	v_add_u32_e32 v34, 64, v34                                 // 00000000F848: 684444C0
	s_nop 0                                                    // 00000000F84C: BF800000
	v_cndmask_b32_e64 v159, v39, v159, s[40:41]                // 00000000F850: D100009F 00A33F27
	s_nop 8                                                    // 00000000F858: BF800008
	v_mov_b32_e32 v50, v112                                    // 00000000F85C: 7E640370
	v_max3_f32 v50, v112, v113, v50                            // 00000000F860: D1D30032 04CAE370
	v_max3_f32 v50, v114, v115, v50                            // 00000000F868: D1D30032 04CAE772
	v_max3_f32 v50, v116, v117, v50                            // 00000000F870: D1D30032 04CAEB74
	v_max3_f32 v50, v118, v119, v50                            // 00000000F878: D1D30032 04CAEF76
	v_max3_f32 v50, v120, v121, v50                            // 00000000F880: D1D30032 04CAF378
	v_max3_f32 v50, v122, v123, v50                            // 00000000F888: D1D30032 04CAF77A
	v_max3_f32 v50, v124, v125, v50                            // 00000000F890: D1D30032 04CAFB7C
	v_max3_f32 v50, v126, v127, v50                            // 00000000F898: D1D30032 04CAFF7E
	ds_write_b32 v11, v50                                      // 00000000F8A0: D81A0000 0000320B
	s_waitcnt lgkmcnt(0)                                       // 00000000F8A8: BF8CC07F
	s_barrier                                                  // 00000000F8AC: BF8A0000
	ds_read_b32 v64, v10                                       // 00000000F8B0: D86C0000 4000000A
	ds_read_b32 v65, v10 offset:64                             // 00000000F8B8: D86C0040 4100000A
	ds_read_b32 v66, v10 offset:128                            // 00000000F8C0: D86C0080 4200000A
	ds_read_b32 v67, v10 offset:192                            // 00000000F8C8: D86C00C0 4300000A
	ds_read_b32 v68, v10 offset:256                            // 00000000F8D0: D86C0100 4400000A
	ds_read_b32 v69, v10 offset:320                            // 00000000F8D8: D86C0140 4500000A
	ds_read_b32 v70, v10 offset:384                            // 00000000F8E0: D86C0180 4600000A
	ds_read_b32 v71, v10 offset:448                            // 00000000F8E8: D86C01C0 4700000A
	ds_read_b32 v72, v10 offset:512                            // 00000000F8F0: D86C0200 4800000A
	ds_read_b32 v73, v10 offset:576                            // 00000000F8F8: D86C0240 4900000A
	ds_read_b32 v74, v10 offset:640                            // 00000000F900: D86C0280 4A00000A
	ds_read_b32 v75, v10 offset:704                            // 00000000F908: D86C02C0 4B00000A
	ds_read_b32 v76, v10 offset:768                            // 00000000F910: D86C0300 4C00000A
	ds_read_b32 v77, v10 offset:832                            // 00000000F918: D86C0340 4D00000A
	ds_read_b32 v78, v10 offset:896                            // 00000000F920: D86C0380 4E00000A
	ds_read_b32 v79, v10 offset:960                            // 00000000F928: D86C03C0 4F00000A
	s_waitcnt lgkmcnt(0)                                       // 00000000F930: BF8CC07F
	v_max3_f32 v50, v64, v65, v50                              // 00000000F934: D1D30032 04CA8340
	v_max3_f32 v50, v66, v67, v50                              // 00000000F93C: D1D30032 04CA8742
	v_max3_f32 v50, v68, v69, v50                              // 00000000F944: D1D30032 04CA8B44
	v_max3_f32 v50, v70, v71, v50                              // 00000000F94C: D1D30032 04CA8F46
	v_max3_f32 v50, v72, v73, v50                              // 00000000F954: D1D30032 04CA9348
	v_max3_f32 v50, v74, v75, v50                              // 00000000F95C: D1D30032 04CA974A
	v_max3_f32 v50, v76, v77, v50                              // 00000000F964: D1D30032 04CA9B4C
	v_max3_f32 v50, v78, v79, v50                              // 00000000F96C: D1D30032 04CA9F4E
	v_cmp_eq_u32_e64 s[40:41], v55, v14                        // 00000000F974: D0CA0028 00021D37
	s_nop 1                                                    // 00000000F97C: BF800001
	v_max_f32_e32 v16, v50, v14                                // 00000000F980: 16201D32
	v_sub_f32_e32 v51, v14, v16                                // 00000000F984: 0466210E
	v_cndmask_b32_e64 v51, v51, 0, s[40:41]                    // 00000000F988: D1000033 00A10133
	v_mov_b32_e32 v14, v16                                     // 00000000F990: 7E1C0310
	v_mul_f32_e32 v53, s64, v16                                // 00000000F994: 0A6A2040
	v_mul_f32_e32 v51, s64, v51                                // 00000000F998: 0A666640
	v_exp_f32_e32 v51, v51                                     // 00000000F99C: 7E664133
	v_fma_f32 v112, v112, s64, -v53                            // 00000000F9A0: D1CB0070 84D48170
	v_fma_f32 v113, v113, s64, -v53                            // 00000000F9A8: D1CB0071 84D48171
	v_fma_f32 v114, v114, s64, -v53                            // 00000000F9B0: D1CB0072 84D48172
	v_fma_f32 v115, v115, s64, -v53                            // 00000000F9B8: D1CB0073 84D48173
	v_fma_f32 v116, v116, s64, -v53                            // 00000000F9C0: D1CB0074 84D48174
	v_fma_f32 v117, v117, s64, -v53                            // 00000000F9C8: D1CB0075 84D48175
	v_fma_f32 v118, v118, s64, -v53                            // 00000000F9D0: D1CB0076 84D48176
	v_fma_f32 v119, v119, s64, -v53                            // 00000000F9D8: D1CB0077 84D48177
	v_fma_f32 v120, v120, s64, -v53                            // 00000000F9E0: D1CB0078 84D48178
	v_fma_f32 v121, v121, s64, -v53                            // 00000000F9E8: D1CB0079 84D48179
	v_fma_f32 v122, v122, s64, -v53                            // 00000000F9F0: D1CB007A 84D4817A
	v_fma_f32 v123, v123, s64, -v53                            // 00000000F9F8: D1CB007B 84D4817B
	v_fma_f32 v124, v124, s64, -v53                            // 00000000FA00: D1CB007C 84D4817C
	v_fma_f32 v125, v125, s64, -v53                            // 00000000FA08: D1CB007D 84D4817D
	v_fma_f32 v126, v126, s64, -v53                            // 00000000FA10: D1CB007E 84D4817E
	v_fma_f32 v127, v127, s64, -v53                            // 00000000FA18: D1CB007F 84D4817F
	v_exp_f32_e32 v112, v112                                   // 00000000FA20: 7EE04170
	v_exp_f32_e32 v113, v113                                   // 00000000FA24: 7EE24171
	v_exp_f32_e32 v114, v114                                   // 00000000FA28: 7EE44172
	v_exp_f32_e32 v115, v115                                   // 00000000FA2C: 7EE64173
	v_exp_f32_e32 v116, v116                                   // 00000000FA30: 7EE84174
	v_exp_f32_e32 v117, v117                                   // 00000000FA34: 7EEA4175
	v_exp_f32_e32 v118, v118                                   // 00000000FA38: 7EEC4176
	v_exp_f32_e32 v119, v119                                   // 00000000FA3C: 7EEE4177
	v_exp_f32_e32 v120, v120                                   // 00000000FA40: 7EF04178
	v_exp_f32_e32 v121, v121                                   // 00000000FA44: 7EF24179
	v_exp_f32_e32 v122, v122                                   // 00000000FA48: 7EF4417A
	v_exp_f32_e32 v123, v123                                   // 00000000FA4C: 7EF6417B
	v_exp_f32_e32 v124, v124                                   // 00000000FA50: 7EF8417C
	v_exp_f32_e32 v125, v125                                   // 00000000FA54: 7EFA417D
	v_exp_f32_e32 v126, v126                                   // 00000000FA58: 7EFC417E
	v_exp_f32_e32 v127, v127                                   // 00000000FA5C: 7EFE417F
	v_mul_f32_e32 v43, v51, v43                                // 00000000FA60: 0A565733
	v_mov_b32_e32 v45, v112                                    // 00000000FA64: 7E5A0370
	v_add_f32_e32 v45, v113, v45                               // 00000000FA68: 025A5B71
	v_add_f32_e32 v45, v114, v45                               // 00000000FA6C: 025A5B72
	v_add_f32_e32 v45, v115, v45                               // 00000000FA70: 025A5B73
	v_add_f32_e32 v45, v116, v45                               // 00000000FA74: 025A5B74
	v_add_f32_e32 v45, v117, v45                               // 00000000FA78: 025A5B75
	v_add_f32_e32 v45, v118, v45                               // 00000000FA7C: 025A5B76
	v_add_f32_e32 v45, v119, v45                               // 00000000FA80: 025A5B77
	v_add_f32_e32 v45, v120, v45                               // 00000000FA84: 025A5B78
	v_add_f32_e32 v45, v121, v45                               // 00000000FA88: 025A5B79
	v_add_f32_e32 v45, v122, v45                               // 00000000FA8C: 025A5B7A
	v_add_f32_e32 v45, v123, v45                               // 00000000FA90: 025A5B7B
	v_add_f32_e32 v45, v124, v45                               // 00000000FA94: 025A5B7C
	v_add_f32_e32 v45, v125, v45                               // 00000000FA98: 025A5B7D
	v_add_f32_e32 v45, v126, v45                               // 00000000FA9C: 025A5B7E
	v_add_f32_e32 v45, v127, v45                               // 00000000FAA0: 025A5B7F
	v_add_f32_e32 v43, v45, v43                                // 00000000FAA4: 0256572D
	v_cmp_u_f32_e64 s[40:41], v112, v112                       // 00000000FAA8: D0480028 0002E170
	v_add3_u32 v19, v112, v22, 1                               // 00000000FAB0: D1FF0013 02062D70
	v_cndmask_b32_e64 v39, v19, v21, s[40:41]                  // 00000000FAB8: D1000027 00A22B13
	v_cmp_u_f32_e64 s[40:41], v113, v113                       // 00000000FAC0: D0480028 0002E371
	v_add3_u32 v19, v113, v22, 1                               // 00000000FAC8: D1FF0013 02062D71
	v_cndmask_b32_e64 v40, v19, v21, s[40:41]                  // 00000000FAD0: D1000028 00A22B13
	v_perm_b32 v112, v40, v39, s52                             // 00000000FAD8: D1ED0070 00D24F28
	v_cmp_u_f32_e64 s[40:41], v114, v114                       // 00000000FAE0: D0480028 0002E572
	v_add3_u32 v19, v114, v22, 1                               // 00000000FAE8: D1FF0013 02062D72
	v_cndmask_b32_e64 v39, v19, v21, s[40:41]                  // 00000000FAF0: D1000027 00A22B13
	v_cmp_u_f32_e64 s[40:41], v115, v115                       // 00000000FAF8: D0480028 0002E773
	v_add3_u32 v19, v115, v22, 1                               // 00000000FB00: D1FF0013 02062D73
	v_cndmask_b32_e64 v40, v19, v21, s[40:41]                  // 00000000FB08: D1000028 00A22B13
	v_perm_b32 v113, v40, v39, s52                             // 00000000FB10: D1ED0071 00D24F28
	v_cmp_u_f32_e64 s[40:41], v116, v116                       // 00000000FB18: D0480028 0002E974
	v_add3_u32 v19, v116, v22, 1                               // 00000000FB20: D1FF0013 02062D74
	v_cndmask_b32_e64 v39, v19, v21, s[40:41]                  // 00000000FB28: D1000027 00A22B13
	v_cmp_u_f32_e64 s[40:41], v117, v117                       // 00000000FB30: D0480028 0002EB75
	v_add3_u32 v19, v117, v22, 1                               // 00000000FB38: D1FF0013 02062D75
	v_cndmask_b32_e64 v40, v19, v21, s[40:41]                  // 00000000FB40: D1000028 00A22B13
	v_perm_b32 v114, v40, v39, s52                             // 00000000FB48: D1ED0072 00D24F28
	v_cmp_u_f32_e64 s[40:41], v118, v118                       // 00000000FB50: D0480028 0002ED76
	v_add3_u32 v19, v118, v22, 1                               // 00000000FB58: D1FF0013 02062D76
	v_cndmask_b32_e64 v39, v19, v21, s[40:41]                  // 00000000FB60: D1000027 00A22B13
	v_cmp_u_f32_e64 s[40:41], v119, v119                       // 00000000FB68: D0480028 0002EF77
	v_add3_u32 v19, v119, v22, 1                               // 00000000FB70: D1FF0013 02062D77
	v_cndmask_b32_e64 v40, v19, v21, s[40:41]                  // 00000000FB78: D1000028 00A22B13
	v_perm_b32 v115, v40, v39, s52                             // 00000000FB80: D1ED0073 00D24F28
	v_cmp_u_f32_e64 s[40:41], v120, v120                       // 00000000FB88: D0480028 0002F178
	v_add3_u32 v19, v120, v22, 1                               // 00000000FB90: D1FF0013 02062D78
	v_cndmask_b32_e64 v39, v19, v21, s[40:41]                  // 00000000FB98: D1000027 00A22B13
	v_cmp_u_f32_e64 s[40:41], v121, v121                       // 00000000FBA0: D0480028 0002F379
	v_add3_u32 v19, v121, v22, 1                               // 00000000FBA8: D1FF0013 02062D79
	v_cndmask_b32_e64 v40, v19, v21, s[40:41]                  // 00000000FBB0: D1000028 00A22B13
	v_perm_b32 v116, v40, v39, s52                             // 00000000FBB8: D1ED0074 00D24F28
	v_cmp_u_f32_e64 s[40:41], v122, v122                       // 00000000FBC0: D0480028 0002F57A
	v_add3_u32 v19, v122, v22, 1                               // 00000000FBC8: D1FF0013 02062D7A
	v_cndmask_b32_e64 v39, v19, v21, s[40:41]                  // 00000000FBD0: D1000027 00A22B13
	v_cmp_u_f32_e64 s[40:41], v123, v123                       // 00000000FBD8: D0480028 0002F77B
	v_add3_u32 v19, v123, v22, 1                               // 00000000FBE0: D1FF0013 02062D7B
	v_cndmask_b32_e64 v40, v19, v21, s[40:41]                  // 00000000FBE8: D1000028 00A22B13
	v_perm_b32 v117, v40, v39, s52                             // 00000000FBF0: D1ED0075 00D24F28
	v_cmp_u_f32_e64 s[40:41], v124, v124                       // 00000000FBF8: D0480028 0002F97C
	v_add3_u32 v19, v124, v22, 1                               // 00000000FC00: D1FF0013 02062D7C
	v_cndmask_b32_e64 v39, v19, v21, s[40:41]                  // 00000000FC08: D1000027 00A22B13
	v_cmp_u_f32_e64 s[40:41], v125, v125                       // 00000000FC10: D0480028 0002FB7D
	v_add3_u32 v19, v125, v22, 1                               // 00000000FC18: D1FF0013 02062D7D
	v_cndmask_b32_e64 v40, v19, v21, s[40:41]                  // 00000000FC20: D1000028 00A22B13
	v_perm_b32 v118, v40, v39, s52                             // 00000000FC28: D1ED0076 00D24F28
	v_cmp_u_f32_e64 s[40:41], v126, v126                       // 00000000FC30: D0480028 0002FD7E
	v_add3_u32 v19, v126, v22, 1                               // 00000000FC38: D1FF0013 02062D7E
	v_cndmask_b32_e64 v39, v19, v21, s[40:41]                  // 00000000FC40: D1000027 00A22B13
	v_cmp_u_f32_e64 s[40:41], v127, v127                       // 00000000FC48: D0480028 0002FF7F
	v_add3_u32 v19, v127, v22, 1                               // 00000000FC50: D1FF0013 02062D7F
	v_cndmask_b32_e64 v40, v19, v21, s[40:41]                  // 00000000FC58: D1000028 00A22B13
	v_perm_b32 v119, v40, v39, s52                             // 00000000FC60: D1ED0077 00D24F28
	ds_write_b64 v13, v[112:113] offset:4096                   // 00000000FC68: D89A1000 0000700D
	ds_write_b64 v13, v[114:115] offset:6144                   // 00000000FC70: D89A1800 0000720D
	ds_write_b64 v13, v[116:117] offset:8192                   // 00000000FC78: D89A2000 0000740D
	ds_write_b64 v13, v[118:119] offset:10240                  // 00000000FC80: D89A2800 0000760D
	s_waitcnt lgkmcnt(0)                                       // 00000000FC88: BF8CC07F
	s_barrier                                                  // 00000000FC8C: BF8A0000
	ds_read_b64 v[112:113], v12 offset:4096                    // 00000000FC90: D8EC1000 7000000C
	ds_read_b64 v[114:115], v12 offset:4224                    // 00000000FC98: D8EC1080 7200000C
	ds_read_b64 v[116:117], v12 offset:5120                    // 00000000FCA0: D8EC1400 7400000C
	ds_read_b64 v[118:119], v12 offset:5248                    // 00000000FCA8: D8EC1480 7600000C
	ds_read_b64 v[120:121], v12 offset:6144                    // 00000000FCB0: D8EC1800 7800000C
	ds_read_b64 v[122:123], v12 offset:6272                    // 00000000FCB8: D8EC1880 7A00000C
	ds_read_b64 v[124:125], v12 offset:7168                    // 00000000FCC0: D8EC1C00 7C00000C
	ds_read_b64 v[126:127], v12 offset:7296                    // 00000000FCC8: D8EC1C80 7E00000C
	ds_read_b64 v[128:129], v12 offset:8192                    // 00000000FCD0: D8EC2000 8000000C
	ds_read_b64 v[130:131], v12 offset:8320                    // 00000000FCD8: D8EC2080 8200000C
	ds_read_b64 v[132:133], v12 offset:9216                    // 00000000FCE0: D8EC2400 8400000C
	ds_read_b64 v[134:135], v12 offset:9344                    // 00000000FCE8: D8EC2480 8600000C
	ds_read_b64 v[136:137], v12 offset:10240                   // 00000000FCF0: D8EC2800 8800000C
	ds_read_b64 v[138:139], v12 offset:10368                   // 00000000FCF8: D8EC2880 8A00000C
	ds_read_b64 v[140:141], v12 offset:11264                   // 00000000FD00: D8EC2C00 8C00000C
	ds_read_b64 v[142:143], v12 offset:11392                   // 00000000FD08: D8EC2C80 8E00000C
	s_waitcnt lgkmcnt(0)                                       // 00000000FD10: BF8CC07F
	s_nop 8                                                    // 00000000FD14: BF800008
	v_mov_b32_e32 v50, v144                                    // 00000000FD18: 7E640390
	v_max3_f32 v50, v144, v145, v50                            // 00000000FD1C: D1D30032 04CB2390
	v_max3_f32 v50, v146, v147, v50                            // 00000000FD24: D1D30032 04CB2792
	v_max3_f32 v50, v148, v149, v50                            // 00000000FD2C: D1D30032 04CB2B94
	v_max3_f32 v50, v150, v151, v50                            // 00000000FD34: D1D30032 04CB2F96
	v_max3_f32 v50, v152, v153, v50                            // 00000000FD3C: D1D30032 04CB3398
	v_max3_f32 v50, v154, v155, v50                            // 00000000FD44: D1D30032 04CB379A
	v_max3_f32 v50, v156, v157, v50                            // 00000000FD4C: D1D30032 04CB3B9C
	v_max3_f32 v50, v158, v159, v50                            // 00000000FD54: D1D30032 04CB3F9E
	ds_write_b32 v11, v50                                      // 00000000FD5C: D81A0000 0000320B
	s_waitcnt lgkmcnt(0)                                       // 00000000FD64: BF8CC07F
	s_barrier                                                  // 00000000FD68: BF8A0000
	ds_read_b32 v64, v10                                       // 00000000FD6C: D86C0000 4000000A
	ds_read_b32 v65, v10 offset:64                             // 00000000FD74: D86C0040 4100000A
	ds_read_b32 v66, v10 offset:128                            // 00000000FD7C: D86C0080 4200000A
	ds_read_b32 v67, v10 offset:192                            // 00000000FD84: D86C00C0 4300000A
	ds_read_b32 v68, v10 offset:256                            // 00000000FD8C: D86C0100 4400000A
	ds_read_b32 v69, v10 offset:320                            // 00000000FD94: D86C0140 4500000A
	ds_read_b32 v70, v10 offset:384                            // 00000000FD9C: D86C0180 4600000A
	ds_read_b32 v71, v10 offset:448                            // 00000000FDA4: D86C01C0 4700000A
	ds_read_b32 v72, v10 offset:512                            // 00000000FDAC: D86C0200 4800000A
	ds_read_b32 v73, v10 offset:576                            // 00000000FDB4: D86C0240 4900000A
	ds_read_b32 v74, v10 offset:640                            // 00000000FDBC: D86C0280 4A00000A
	ds_read_b32 v75, v10 offset:704                            // 00000000FDC4: D86C02C0 4B00000A
	ds_read_b32 v76, v10 offset:768                            // 00000000FDCC: D86C0300 4C00000A
	ds_read_b32 v77, v10 offset:832                            // 00000000FDD4: D86C0340 4D00000A
	ds_read_b32 v78, v10 offset:896                            // 00000000FDDC: D86C0380 4E00000A
	ds_read_b32 v79, v10 offset:960                            // 00000000FDE4: D86C03C0 4F00000A
	s_waitcnt lgkmcnt(0)                                       // 00000000FDEC: BF8CC07F
	v_max3_f32 v50, v64, v65, v50                              // 00000000FDF0: D1D30032 04CA8340
	v_max3_f32 v50, v66, v67, v50                              // 00000000FDF8: D1D30032 04CA8742
	v_max3_f32 v50, v68, v69, v50                              // 00000000FE00: D1D30032 04CA8B44
	v_max3_f32 v50, v70, v71, v50                              // 00000000FE08: D1D30032 04CA8F46
	v_max3_f32 v50, v72, v73, v50                              // 00000000FE10: D1D30032 04CA9348
	v_max3_f32 v50, v74, v75, v50                              // 00000000FE18: D1D30032 04CA974A
	v_max3_f32 v50, v76, v77, v50                              // 00000000FE20: D1D30032 04CA9B4C
	v_max3_f32 v50, v78, v79, v50                              // 00000000FE28: D1D30032 04CA9F4E
	v_cmp_eq_u32_e64 s[40:41], v55, v15                        // 00000000FE30: D0CA0028 00021F37
	s_nop 1                                                    // 00000000FE38: BF800001
	v_max_f32_e32 v16, v50, v15                                // 00000000FE3C: 16201F32
	v_sub_f32_e32 v52, v15, v16                                // 00000000FE40: 0468210F
	v_cndmask_b32_e64 v52, v52, 0, s[40:41]                    // 00000000FE44: D1000034 00A10134
	v_mov_b32_e32 v15, v16                                     // 00000000FE4C: 7E1E0310
	v_mul_f32_e32 v53, s64, v16                                // 00000000FE50: 0A6A2040
	v_mul_f32_e32 v52, s64, v52                                // 00000000FE54: 0A686840
	v_exp_f32_e32 v52, v52                                     // 00000000FE58: 7E684134
	v_fma_f32 v144, v144, s64, -v53                            // 00000000FE5C: D1CB0090 84D48190
	v_fma_f32 v145, v145, s64, -v53                            // 00000000FE64: D1CB0091 84D48191
	v_fma_f32 v146, v146, s64, -v53                            // 00000000FE6C: D1CB0092 84D48192
	v_fma_f32 v147, v147, s64, -v53                            // 00000000FE74: D1CB0093 84D48193
	v_fma_f32 v148, v148, s64, -v53                            // 00000000FE7C: D1CB0094 84D48194
	v_fma_f32 v149, v149, s64, -v53                            // 00000000FE84: D1CB0095 84D48195
	v_fma_f32 v150, v150, s64, -v53                            // 00000000FE8C: D1CB0096 84D48196
	v_fma_f32 v151, v151, s64, -v53                            // 00000000FE94: D1CB0097 84D48197
	v_fma_f32 v152, v152, s64, -v53                            // 00000000FE9C: D1CB0098 84D48198
	v_fma_f32 v153, v153, s64, -v53                            // 00000000FEA4: D1CB0099 84D48199
	v_fma_f32 v154, v154, s64, -v53                            // 00000000FEAC: D1CB009A 84D4819A
	v_fma_f32 v155, v155, s64, -v53                            // 00000000FEB4: D1CB009B 84D4819B
	v_fma_f32 v156, v156, s64, -v53                            // 00000000FEBC: D1CB009C 84D4819C
	v_fma_f32 v157, v157, s64, -v53                            // 00000000FEC4: D1CB009D 84D4819D
	v_fma_f32 v158, v158, s64, -v53                            // 00000000FECC: D1CB009E 84D4819E
	v_fma_f32 v159, v159, s64, -v53                            // 00000000FED4: D1CB009F 84D4819F
	v_exp_f32_e32 v144, v144                                   // 00000000FEDC: 7F204190
	v_exp_f32_e32 v145, v145                                   // 00000000FEE0: 7F224191
	v_exp_f32_e32 v146, v146                                   // 00000000FEE4: 7F244192
	v_exp_f32_e32 v147, v147                                   // 00000000FEE8: 7F264193
	v_exp_f32_e32 v148, v148                                   // 00000000FEEC: 7F284194
	v_exp_f32_e32 v149, v149                                   // 00000000FEF0: 7F2A4195
	v_exp_f32_e32 v150, v150                                   // 00000000FEF4: 7F2C4196
	v_exp_f32_e32 v151, v151                                   // 00000000FEF8: 7F2E4197
	v_exp_f32_e32 v152, v152                                   // 00000000FEFC: 7F304198
	v_exp_f32_e32 v153, v153                                   // 00000000FF00: 7F324199
	v_exp_f32_e32 v154, v154                                   // 00000000FF04: 7F34419A
	v_exp_f32_e32 v155, v155                                   // 00000000FF08: 7F36419B
	v_exp_f32_e32 v156, v156                                   // 00000000FF0C: 7F38419C
	v_exp_f32_e32 v157, v157                                   // 00000000FF10: 7F3A419D
	v_exp_f32_e32 v158, v158                                   // 00000000FF14: 7F3C419E
	v_exp_f32_e32 v159, v159                                   // 00000000FF18: 7F3E419F
	v_mul_f32_e32 v44, v52, v44                                // 00000000FF1C: 0A585934
	v_mov_b32_e32 v45, v144                                    // 00000000FF20: 7E5A0390
	v_add_f32_e32 v45, v145, v45                               // 00000000FF24: 025A5B91
	v_add_f32_e32 v45, v146, v45                               // 00000000FF28: 025A5B92
	v_add_f32_e32 v45, v147, v45                               // 00000000FF2C: 025A5B93
	v_add_f32_e32 v45, v148, v45                               // 00000000FF30: 025A5B94
	v_add_f32_e32 v45, v149, v45                               // 00000000FF34: 025A5B95
	v_add_f32_e32 v45, v150, v45                               // 00000000FF38: 025A5B96
	v_add_f32_e32 v45, v151, v45                               // 00000000FF3C: 025A5B97
	v_add_f32_e32 v45, v152, v45                               // 00000000FF40: 025A5B98
	v_add_f32_e32 v45, v153, v45                               // 00000000FF44: 025A5B99
	v_add_f32_e32 v45, v154, v45                               // 00000000FF48: 025A5B9A
	v_add_f32_e32 v45, v155, v45                               // 00000000FF4C: 025A5B9B
	v_add_f32_e32 v45, v156, v45                               // 00000000FF50: 025A5B9C
	v_add_f32_e32 v45, v157, v45                               // 00000000FF54: 025A5B9D
	v_add_f32_e32 v45, v158, v45                               // 00000000FF58: 025A5B9E
	v_add_f32_e32 v45, v159, v45                               // 00000000FF5C: 025A5B9F
	v_add_f32_e32 v44, v45, v44                                // 00000000FF60: 0258592D
	v_cmp_u_f32_e64 s[40:41], v144, v144                       // 00000000FF64: D0480028 00032190
	v_add3_u32 v19, v144, v22, 1                               // 00000000FF6C: D1FF0013 02062D90
	v_cndmask_b32_e64 v39, v19, v21, s[40:41]                  // 00000000FF74: D1000027 00A22B13
	v_cmp_u_f32_e64 s[40:41], v145, v145                       // 00000000FF7C: D0480028 00032391
	v_add3_u32 v19, v145, v22, 1                               // 00000000FF84: D1FF0013 02062D91
	v_cndmask_b32_e64 v40, v19, v21, s[40:41]                  // 00000000FF8C: D1000028 00A22B13
	v_perm_b32 v144, v40, v39, s52                             // 00000000FF94: D1ED0090 00D24F28
	v_cmp_u_f32_e64 s[40:41], v146, v146                       // 00000000FF9C: D0480028 00032592
	v_add3_u32 v19, v146, v22, 1                               // 00000000FFA4: D1FF0013 02062D92
	v_cndmask_b32_e64 v39, v19, v21, s[40:41]                  // 00000000FFAC: D1000027 00A22B13
	v_cmp_u_f32_e64 s[40:41], v147, v147                       // 00000000FFB4: D0480028 00032793
	v_add3_u32 v19, v147, v22, 1                               // 00000000FFBC: D1FF0013 02062D93
	v_cndmask_b32_e64 v40, v19, v21, s[40:41]                  // 00000000FFC4: D1000028 00A22B13
	v_perm_b32 v145, v40, v39, s52                             // 00000000FFCC: D1ED0091 00D24F28
	v_cmp_u_f32_e64 s[40:41], v148, v148                       // 00000000FFD4: D0480028 00032994
	v_add3_u32 v19, v148, v22, 1                               // 00000000FFDC: D1FF0013 02062D94
	v_cndmask_b32_e64 v39, v19, v21, s[40:41]                  // 00000000FFE4: D1000027 00A22B13
	v_cmp_u_f32_e64 s[40:41], v149, v149                       // 00000000FFEC: D0480028 00032B95
	v_add3_u32 v19, v149, v22, 1                               // 00000000FFF4: D1FF0013 02062D95
	v_cndmask_b32_e64 v40, v19, v21, s[40:41]                  // 00000000FFFC: D1000028 00A22B13
	v_perm_b32 v146, v40, v39, s52                             // 000000010004: D1ED0092 00D24F28
	v_cmp_u_f32_e64 s[40:41], v150, v150                       // 00000001000C: D0480028 00032D96
	v_add3_u32 v19, v150, v22, 1                               // 000000010014: D1FF0013 02062D96
	v_cndmask_b32_e64 v39, v19, v21, s[40:41]                  // 00000001001C: D1000027 00A22B13
	v_cmp_u_f32_e64 s[40:41], v151, v151                       // 000000010024: D0480028 00032F97
	v_add3_u32 v19, v151, v22, 1                               // 00000001002C: D1FF0013 02062D97
	v_cndmask_b32_e64 v40, v19, v21, s[40:41]                  // 000000010034: D1000028 00A22B13
	v_perm_b32 v147, v40, v39, s52                             // 00000001003C: D1ED0093 00D24F28
	v_cmp_u_f32_e64 s[40:41], v152, v152                       // 000000010044: D0480028 00033198
	v_add3_u32 v19, v152, v22, 1                               // 00000001004C: D1FF0013 02062D98
	v_cndmask_b32_e64 v39, v19, v21, s[40:41]                  // 000000010054: D1000027 00A22B13
	v_cmp_u_f32_e64 s[40:41], v153, v153                       // 00000001005C: D0480028 00033399
	v_add3_u32 v19, v153, v22, 1                               // 000000010064: D1FF0013 02062D99
	v_cndmask_b32_e64 v40, v19, v21, s[40:41]                  // 00000001006C: D1000028 00A22B13
	v_perm_b32 v148, v40, v39, s52                             // 000000010074: D1ED0094 00D24F28
	v_cmp_u_f32_e64 s[40:41], v154, v154                       // 00000001007C: D0480028 0003359A
	v_add3_u32 v19, v154, v22, 1                               // 000000010084: D1FF0013 02062D9A
	v_cndmask_b32_e64 v39, v19, v21, s[40:41]                  // 00000001008C: D1000027 00A22B13
	v_cmp_u_f32_e64 s[40:41], v155, v155                       // 000000010094: D0480028 0003379B
	v_add3_u32 v19, v155, v22, 1                               // 00000001009C: D1FF0013 02062D9B
	v_cndmask_b32_e64 v40, v19, v21, s[40:41]                  // 0000000100A4: D1000028 00A22B13
	v_perm_b32 v149, v40, v39, s52                             // 0000000100AC: D1ED0095 00D24F28
	v_cmp_u_f32_e64 s[40:41], v156, v156                       // 0000000100B4: D0480028 0003399C
	v_add3_u32 v19, v156, v22, 1                               // 0000000100BC: D1FF0013 02062D9C
	v_cndmask_b32_e64 v39, v19, v21, s[40:41]                  // 0000000100C4: D1000027 00A22B13
	v_cmp_u_f32_e64 s[40:41], v157, v157                       // 0000000100CC: D0480028 00033B9D
	v_add3_u32 v19, v157, v22, 1                               // 0000000100D4: D1FF0013 02062D9D
	v_cndmask_b32_e64 v40, v19, v21, s[40:41]                  // 0000000100DC: D1000028 00A22B13
	v_perm_b32 v150, v40, v39, s52                             // 0000000100E4: D1ED0096 00D24F28
	v_cmp_u_f32_e64 s[40:41], v158, v158                       // 0000000100EC: D0480028 00033D9E
	v_add3_u32 v19, v158, v22, 1                               // 0000000100F4: D1FF0013 02062D9E
	v_cndmask_b32_e64 v39, v19, v21, s[40:41]                  // 0000000100FC: D1000027 00A22B13
	v_cmp_u_f32_e64 s[40:41], v159, v159                       // 000000010104: D0480028 00033F9F
	v_add3_u32 v19, v159, v22, 1                               // 00000001010C: D1FF0013 02062D9F
	v_cndmask_b32_e64 v40, v19, v21, s[40:41]                  // 000000010114: D1000028 00A22B13
	v_perm_b32 v151, v40, v39, s52                             // 00000001011C: D1ED0097 00D24F28
	ds_write_b64 v13, v[144:145] offset:4096                   // 000000010124: D89A1000 0000900D
	ds_write_b64 v13, v[146:147] offset:6144                   // 00000001012C: D89A1800 0000920D
	ds_write_b64 v13, v[148:149] offset:8192                   // 000000010134: D89A2000 0000940D
	ds_write_b64 v13, v[150:151] offset:10240                  // 00000001013C: D89A2800 0000960D
	s_waitcnt lgkmcnt(0)                                       // 000000010144: BF8CC07F
	s_barrier                                                  // 000000010148: BF8A0000
	ds_read_b64 v[144:145], v12 offset:4096                    // 00000001014C: D8EC1000 9000000C
	ds_read_b64 v[146:147], v12 offset:4224                    // 000000010154: D8EC1080 9200000C
	ds_read_b64 v[148:149], v12 offset:5120                    // 00000001015C: D8EC1400 9400000C
	ds_read_b64 v[150:151], v12 offset:5248                    // 000000010164: D8EC1480 9600000C
	ds_read_b64 v[152:153], v12 offset:6144                    // 00000001016C: D8EC1800 9800000C
	ds_read_b64 v[154:155], v12 offset:6272                    // 000000010174: D8EC1880 9A00000C
	ds_read_b64 v[156:157], v12 offset:7168                    // 00000001017C: D8EC1C00 9C00000C
	ds_read_b64 v[158:159], v12 offset:7296                    // 000000010184: D8EC1C80 9E00000C
	ds_read_b64 v[160:161], v12 offset:8192                    // 00000001018C: D8EC2000 A000000C
	ds_read_b64 v[162:163], v12 offset:8320                    // 000000010194: D8EC2080 A200000C
	ds_read_b64 v[164:165], v12 offset:9216                    // 00000001019C: D8EC2400 A400000C
	ds_read_b64 v[166:167], v12 offset:9344                    // 0000000101A4: D8EC2480 A600000C
	ds_read_b64 v[168:169], v12 offset:10240                   // 0000000101AC: D8EC2800 A800000C
	ds_read_b64 v[170:171], v12 offset:10368                   // 0000000101B4: D8EC2880 AA00000C
	ds_read_b64 v[172:173], v12 offset:11264                   // 0000000101BC: D8EC2C00 AC00000C
	ds_read_b64 v[174:175], v12 offset:11392                   // 0000000101C4: D8EC2C80 AE00000C
	s_waitcnt lgkmcnt(0)                                       // 0000000101CC: BF8CC07F
	v_mul_f32_e32 v176, v51, v176                              // 0000000101D0: 0B616133
	v_mul_f32_e32 v177, v51, v177                              // 0000000101D4: 0B636333
	v_mul_f32_e32 v178, v51, v178                              // 0000000101D8: 0B656533
	v_mul_f32_e32 v179, v51, v179                              // 0000000101DC: 0B676733
	v_mul_f32_e32 v180, v51, v180                              // 0000000101E0: 0B696933
	v_mul_f32_e32 v181, v51, v181                              // 0000000101E4: 0B6B6B33
	v_mul_f32_e32 v182, v51, v182                              // 0000000101E8: 0B6D6D33
	v_mul_f32_e32 v183, v51, v183                              // 0000000101EC: 0B6F6F33
	v_mul_f32_e32 v184, v52, v184                              // 0000000101F0: 0B717134
	v_mul_f32_e32 v185, v52, v185                              // 0000000101F4: 0B737334
	v_mul_f32_e32 v186, v52, v186                              // 0000000101F8: 0B757534
	v_mul_f32_e32 v187, v52, v187                              // 0000000101FC: 0B777734
	v_mul_f32_e32 v188, v52, v188                              // 000000010200: 0B797934
	v_mul_f32_e32 v189, v52, v189                              // 000000010204: 0B7B7B34
	v_mul_f32_e32 v190, v52, v190                              // 000000010208: 0B7D7D34
	v_mul_f32_e32 v191, v52, v191                              // 00000001020C: 0B7F7F34
	s_waitcnt vmcnt(0)                                         // 000000010210: BF8C0F70
	s_barrier                                                  // 000000010214: BF8A0000
	v_mfma_f32_16x16x16_bf16 v[176:179], a[192:193], v[112:113], v[176:179]// 000000010218: D3E100B0 0EC2E1C0
	v_mfma_f32_16x16x16_bf16 v[176:179], a[194:195], v[114:115], v[176:179]// 000000010220: D3E100B0 0EC2E5C2
	v_mfma_f32_16x16x16_bf16 v[176:179], a[196:197], v[116:117], v[176:179]// 000000010228: D3E100B0 0EC2E9C4
	v_mfma_f32_16x16x16_bf16 v[176:179], a[198:199], v[118:119], v[176:179]// 000000010230: D3E100B0 0EC2EDC6
	v_mfma_f32_16x16x16_bf16 v[176:179], a[200:201], v[120:121], v[176:179]// 000000010238: D3E100B0 0EC2F1C8
	v_mfma_f32_16x16x16_bf16 v[176:179], a[202:203], v[122:123], v[176:179]// 000000010240: D3E100B0 0EC2F5CA
	v_mfma_f32_16x16x16_bf16 v[176:179], a[204:205], v[124:125], v[176:179]// 000000010248: D3E100B0 0EC2F9CC
	v_mfma_f32_16x16x16_bf16 v[176:179], a[206:207], v[126:127], v[176:179]// 000000010250: D3E100B0 0EC2FDCE
	v_mfma_f32_16x16x16_bf16 v[176:179], a[208:209], v[128:129], v[176:179]// 000000010258: D3E100B0 0EC301D0
	v_mfma_f32_16x16x16_bf16 v[176:179], a[210:211], v[130:131], v[176:179]// 000000010260: D3E100B0 0EC305D2
	v_mfma_f32_16x16x16_bf16 v[176:179], a[212:213], v[132:133], v[176:179]// 000000010268: D3E100B0 0EC309D4
	v_mfma_f32_16x16x16_bf16 v[176:179], a[214:215], v[134:135], v[176:179]// 000000010270: D3E100B0 0EC30DD6
	v_mfma_f32_16x16x16_bf16 v[176:179], a[216:217], v[136:137], v[176:179]// 000000010278: D3E100B0 0EC311D8
	v_mfma_f32_16x16x16_bf16 v[176:179], a[218:219], v[138:139], v[176:179]// 000000010280: D3E100B0 0EC315DA
	v_mfma_f32_16x16x16_bf16 v[176:179], a[220:221], v[140:141], v[176:179]// 000000010288: D3E100B0 0EC319DC
	v_mfma_f32_16x16x16_bf16 v[176:179], a[222:223], v[142:143], v[176:179]// 000000010290: D3E100B0 0EC31DDE
	v_mfma_f32_16x16x16_bf16 v[180:183], a[224:225], v[112:113], v[180:183]// 000000010298: D3E100B4 0ED2E1E0
	v_mfma_f32_16x16x16_bf16 v[180:183], a[226:227], v[114:115], v[180:183]// 0000000102A0: D3E100B4 0ED2E5E2
	v_mfma_f32_16x16x16_bf16 v[180:183], a[228:229], v[116:117], v[180:183]// 0000000102A8: D3E100B4 0ED2E9E4
	v_mfma_f32_16x16x16_bf16 v[180:183], a[230:231], v[118:119], v[180:183]// 0000000102B0: D3E100B4 0ED2EDE6
	v_mfma_f32_16x16x16_bf16 v[180:183], a[232:233], v[120:121], v[180:183]// 0000000102B8: D3E100B4 0ED2F1E8
	v_mfma_f32_16x16x16_bf16 v[180:183], a[234:235], v[122:123], v[180:183]// 0000000102C0: D3E100B4 0ED2F5EA
	v_mfma_f32_16x16x16_bf16 v[180:183], a[236:237], v[124:125], v[180:183]// 0000000102C8: D3E100B4 0ED2F9EC
	v_mfma_f32_16x16x16_bf16 v[180:183], a[238:239], v[126:127], v[180:183]// 0000000102D0: D3E100B4 0ED2FDEE
	v_mfma_f32_16x16x16_bf16 v[180:183], a[240:241], v[128:129], v[180:183]// 0000000102D8: D3E100B4 0ED301F0
	v_mfma_f32_16x16x16_bf16 v[180:183], a[242:243], v[130:131], v[180:183]// 0000000102E0: D3E100B4 0ED305F2
	v_mfma_f32_16x16x16_bf16 v[180:183], a[244:245], v[132:133], v[180:183]// 0000000102E8: D3E100B4 0ED309F4
	v_mfma_f32_16x16x16_bf16 v[180:183], a[246:247], v[134:135], v[180:183]// 0000000102F0: D3E100B4 0ED30DF6
	v_mfma_f32_16x16x16_bf16 v[180:183], a[248:249], v[136:137], v[180:183]// 0000000102F8: D3E100B4 0ED311F8
	v_mfma_f32_16x16x16_bf16 v[180:183], a[250:251], v[138:139], v[180:183]// 000000010300: D3E100B4 0ED315FA
	v_mfma_f32_16x16x16_bf16 v[180:183], a[252:253], v[140:141], v[180:183]// 000000010308: D3E100B4 0ED319FC
	v_mfma_f32_16x16x16_bf16 v[180:183], a[254:255], v[142:143], v[180:183]// 000000010310: D3E100B4 0ED31DFE
	v_mfma_f32_16x16x16_bf16 v[184:187], a[192:193], v[144:145], v[184:187]// 000000010318: D3E100B8 0EE321C0
	v_mfma_f32_16x16x16_bf16 v[184:187], a[194:195], v[146:147], v[184:187]// 000000010320: D3E100B8 0EE325C2
	v_mfma_f32_16x16x16_bf16 v[184:187], a[196:197], v[148:149], v[184:187]// 000000010328: D3E100B8 0EE329C4
	v_mfma_f32_16x16x16_bf16 v[184:187], a[198:199], v[150:151], v[184:187]// 000000010330: D3E100B8 0EE32DC6
	v_mfma_f32_16x16x16_bf16 v[184:187], a[200:201], v[152:153], v[184:187]// 000000010338: D3E100B8 0EE331C8
	v_mfma_f32_16x16x16_bf16 v[184:187], a[202:203], v[154:155], v[184:187]// 000000010340: D3E100B8 0EE335CA
	v_mfma_f32_16x16x16_bf16 v[184:187], a[204:205], v[156:157], v[184:187]// 000000010348: D3E100B8 0EE339CC
	v_mfma_f32_16x16x16_bf16 v[184:187], a[206:207], v[158:159], v[184:187]// 000000010350: D3E100B8 0EE33DCE
	v_mfma_f32_16x16x16_bf16 v[184:187], a[208:209], v[160:161], v[184:187]// 000000010358: D3E100B8 0EE341D0
	v_mfma_f32_16x16x16_bf16 v[184:187], a[210:211], v[162:163], v[184:187]// 000000010360: D3E100B8 0EE345D2
	v_mfma_f32_16x16x16_bf16 v[184:187], a[212:213], v[164:165], v[184:187]// 000000010368: D3E100B8 0EE349D4
	v_mfma_f32_16x16x16_bf16 v[184:187], a[214:215], v[166:167], v[184:187]// 000000010370: D3E100B8 0EE34DD6
	v_mfma_f32_16x16x16_bf16 v[184:187], a[216:217], v[168:169], v[184:187]// 000000010378: D3E100B8 0EE351D8
	v_mfma_f32_16x16x16_bf16 v[184:187], a[218:219], v[170:171], v[184:187]// 000000010380: D3E100B8 0EE355DA
	v_mfma_f32_16x16x16_bf16 v[184:187], a[220:221], v[172:173], v[184:187]// 000000010388: D3E100B8 0EE359DC
	v_mfma_f32_16x16x16_bf16 v[184:187], a[222:223], v[174:175], v[184:187]// 000000010390: D3E100B8 0EE35DDE
	v_mfma_f32_16x16x16_bf16 v[188:191], a[224:225], v[144:145], v[188:191]// 000000010398: D3E100BC 0EF321E0
	v_mfma_f32_16x16x16_bf16 v[188:191], a[226:227], v[146:147], v[188:191]// 0000000103A0: D3E100BC 0EF325E2
	v_mfma_f32_16x16x16_bf16 v[188:191], a[228:229], v[148:149], v[188:191]// 0000000103A8: D3E100BC 0EF329E4
	v_mfma_f32_16x16x16_bf16 v[188:191], a[230:231], v[150:151], v[188:191]// 0000000103B0: D3E100BC 0EF32DE6
	v_mfma_f32_16x16x16_bf16 v[188:191], a[232:233], v[152:153], v[188:191]// 0000000103B8: D3E100BC 0EF331E8
	v_mfma_f32_16x16x16_bf16 v[188:191], a[234:235], v[154:155], v[188:191]// 0000000103C0: D3E100BC 0EF335EA
	v_mfma_f32_16x16x16_bf16 v[188:191], a[236:237], v[156:157], v[188:191]// 0000000103C8: D3E100BC 0EF339EC
	v_mfma_f32_16x16x16_bf16 v[188:191], a[238:239], v[158:159], v[188:191]// 0000000103D0: D3E100BC 0EF33DEE
	v_mfma_f32_16x16x16_bf16 v[188:191], a[240:241], v[160:161], v[188:191]// 0000000103D8: D3E100BC 0EF341F0
	v_mfma_f32_16x16x16_bf16 v[188:191], a[242:243], v[162:163], v[188:191]// 0000000103E0: D3E100BC 0EF345F2
	v_mfma_f32_16x16x16_bf16 v[188:191], a[244:245], v[164:165], v[188:191]// 0000000103E8: D3E100BC 0EF349F4
	v_mfma_f32_16x16x16_bf16 v[188:191], a[246:247], v[166:167], v[188:191]// 0000000103F0: D3E100BC 0EF34DF6
	v_mfma_f32_16x16x16_bf16 v[188:191], a[248:249], v[168:169], v[188:191]// 0000000103F8: D3E100BC 0EF351F8
	v_mfma_f32_16x16x16_bf16 v[188:191], a[250:251], v[170:171], v[188:191]// 000000010400: D3E100BC 0EF355FA
	v_mfma_f32_16x16x16_bf16 v[188:191], a[252:253], v[172:173], v[188:191]// 000000010408: D3E100BC 0EF359FC
	v_mfma_f32_16x16x16_bf16 v[188:191], a[254:255], v[174:175], v[188:191]// 000000010410: D3E100BC 0EF35DFE
	s_nop 8                                                    // 000000010418: BF800008
	s_branch label_3889                                        // 00000001041C: BF820000

0000000000010420 <label_3889>:
	s_mov_b32 s60, 0xa0                                        // 000000010420: BEBC00FF 000000A0
	s_cmp_eq_i32 s60, s88                                      // 000000010428: BF00583C
	s_cbranch_scc1 label_39D6                                  // 00000001042C: BF850149
	ds_write_b32 v11, v43                                      // 000000010430: D81A0000 00002B0B
	s_waitcnt lgkmcnt(0)                                       // 000000010438: BF8CC07F
	s_barrier                                                  // 00000001043C: BF8A0000
	ds_read_b32 v64, v10                                       // 000000010440: D86C0000 4000000A
	ds_read_b32 v65, v10 offset:64                             // 000000010448: D86C0040 4100000A
	ds_read_b32 v66, v10 offset:128                            // 000000010450: D86C0080 4200000A
	ds_read_b32 v67, v10 offset:192                            // 000000010458: D86C00C0 4300000A
	ds_read_b32 v68, v10 offset:256                            // 000000010460: D86C0100 4400000A
	ds_read_b32 v69, v10 offset:320                            // 000000010468: D86C0140 4500000A
	ds_read_b32 v70, v10 offset:384                            // 000000010470: D86C0180 4600000A
	ds_read_b32 v71, v10 offset:448                            // 000000010478: D86C01C0 4700000A
	ds_read_b32 v72, v10 offset:512                            // 000000010480: D86C0200 4800000A
	ds_read_b32 v73, v10 offset:576                            // 000000010488: D86C0240 4900000A
	ds_read_b32 v74, v10 offset:640                            // 000000010490: D86C0280 4A00000A
	ds_read_b32 v75, v10 offset:704                            // 000000010498: D86C02C0 4B00000A
	ds_read_b32 v76, v10 offset:768                            // 0000000104A0: D86C0300 4C00000A
	ds_read_b32 v77, v10 offset:832                            // 0000000104A8: D86C0340 4D00000A
	ds_read_b32 v78, v10 offset:896                            // 0000000104B0: D86C0380 4E00000A
	ds_read_b32 v79, v10 offset:960                            // 0000000104B8: D86C03C0 4F00000A
	s_waitcnt lgkmcnt(0)                                       // 0000000104C0: BF8CC07F
	v_mov_b32_e32 v43, 0                                       // 0000000104C4: 7E560280
	v_add_f32_e32 v43, v64, v43                                // 0000000104C8: 02565740
	v_add_f32_e32 v43, v65, v43                                // 0000000104CC: 02565741
	v_add_f32_e32 v43, v66, v43                                // 0000000104D0: 02565742
	v_add_f32_e32 v43, v67, v43                                // 0000000104D4: 02565743
	v_add_f32_e32 v43, v68, v43                                // 0000000104D8: 02565744
	v_add_f32_e32 v43, v69, v43                                // 0000000104DC: 02565745
	v_add_f32_e32 v43, v70, v43                                // 0000000104E0: 02565746
	v_add_f32_e32 v43, v71, v43                                // 0000000104E4: 02565747
	v_add_f32_e32 v43, v72, v43                                // 0000000104E8: 02565748
	v_add_f32_e32 v43, v73, v43                                // 0000000104EC: 02565749
	v_add_f32_e32 v43, v74, v43                                // 0000000104F0: 0256574A
	v_add_f32_e32 v43, v75, v43                                // 0000000104F4: 0256574B
	v_add_f32_e32 v43, v76, v43                                // 0000000104F8: 0256574C
	v_add_f32_e32 v43, v77, v43                                // 0000000104FC: 0256574D
	v_add_f32_e32 v43, v78, v43                                // 000000010500: 0256574E
	v_add_f32_e32 v43, v79, v43                                // 000000010504: 0256574F
	s_nop 1                                                    // 000000010508: BF800001
	v_rcp_f32_e32 v43, v43                                     // 00000001050C: 7E56452B
	s_nop 1                                                    // 000000010510: BF800001
	v_mul_f32_e32 v176, v43, v176                              // 000000010514: 0B61612B
	v_mul_f32_e32 v177, v43, v177                              // 000000010518: 0B63632B
	v_mul_f32_e32 v178, v43, v178                              // 00000001051C: 0B65652B
	v_mul_f32_e32 v179, v43, v179                              // 000000010520: 0B67672B
	v_mul_f32_e32 v180, v43, v180                              // 000000010524: 0B69692B
	v_mul_f32_e32 v181, v43, v181                              // 000000010528: 0B6B6B2B
	v_mul_f32_e32 v182, v43, v182                              // 00000001052C: 0B6D6D2B
	v_mul_f32_e32 v183, v43, v183                              // 000000010530: 0B6F6F2B
	v_cmp_u_f32_e64 s[40:41], v176, v176                       // 000000010534: D0480028 000361B0
	v_add3_u32 v19, v176, v22, 1                               // 00000001053C: D1FF0013 02062DB0
	v_cndmask_b32_e64 v39, v19, v21, s[40:41]                  // 000000010544: D1000027 00A22B13
	v_cmp_u_f32_e64 s[40:41], v177, v177                       // 00000001054C: D0480028 000363B1
	v_add3_u32 v19, v177, v22, 1                               // 000000010554: D1FF0013 02062DB1
	v_cndmask_b32_e64 v40, v19, v21, s[40:41]                  // 00000001055C: D1000028 00A22B13
	v_perm_b32 v176, v40, v39, s52                             // 000000010564: D1ED00B0 00D24F28
	v_cmp_u_f32_e64 s[40:41], v178, v178                       // 00000001056C: D0480028 000365B2
	v_add3_u32 v19, v178, v22, 1                               // 000000010574: D1FF0013 02062DB2
	v_cndmask_b32_e64 v39, v19, v21, s[40:41]                  // 00000001057C: D1000027 00A22B13
	v_cmp_u_f32_e64 s[40:41], v179, v179                       // 000000010584: D0480028 000367B3
	v_add3_u32 v19, v179, v22, 1                               // 00000001058C: D1FF0013 02062DB3
	v_cndmask_b32_e64 v40, v19, v21, s[40:41]                  // 000000010594: D1000028 00A22B13
	v_perm_b32 v177, v40, v39, s52                             // 00000001059C: D1ED00B1 00D24F28
	v_cmp_u_f32_e64 s[40:41], v180, v180                       // 0000000105A4: D0480028 000369B4
	v_add3_u32 v19, v180, v22, 1                               // 0000000105AC: D1FF0013 02062DB4
	v_cndmask_b32_e64 v39, v19, v21, s[40:41]                  // 0000000105B4: D1000027 00A22B13
	v_cmp_u_f32_e64 s[40:41], v181, v181                       // 0000000105BC: D0480028 00036BB5
	v_add3_u32 v19, v181, v22, 1                               // 0000000105C4: D1FF0013 02062DB5
	v_cndmask_b32_e64 v40, v19, v21, s[40:41]                  // 0000000105CC: D1000028 00A22B13
	v_perm_b32 v178, v40, v39, s52                             // 0000000105D4: D1ED00B2 00D24F28
	v_cmp_u_f32_e64 s[40:41], v182, v182                       // 0000000105DC: D0480028 00036DB6
	v_add3_u32 v19, v182, v22, 1                               // 0000000105E4: D1FF0013 02062DB6
	v_cndmask_b32_e64 v39, v19, v21, s[40:41]                  // 0000000105EC: D1000027 00A22B13
	v_cmp_u_f32_e64 s[40:41], v183, v183                       // 0000000105F4: D0480028 00036FB7
	v_add3_u32 v19, v183, v22, 1                               // 0000000105FC: D1FF0013 02062DB7
	v_cndmask_b32_e64 v40, v19, v21, s[40:41]                  // 000000010604: D1000028 00A22B13
	v_perm_b32 v179, v40, v39, s52                             // 00000001060C: D1ED00B3 00D24F28
	v_lshrrev_b32_e32 v39, 4, v0                               // 000000010614: 204E0084
	v_mul_i32_i24_e32 v5, 34, v39                              // 000000010618: 0C0A4EA2
	v_and_b32_e32 v39, 15, v0                                  // 00000001061C: 264E008F
	v_mul_i32_i24_e32 v40, 2, v39                              // 000000010620: 0C504E82
	v_add_u32_e32 v5, v40, v5                                  // 000000010624: 680A0B28
	s_mul_i32 s60, s7, 0x88                                    // 000000010628: 923CFF07 00000088
	v_add_u32_e32 v5, s60, v5                                  // 000000010630: 680A0A3C
	v_lshlrev_b32_e32 v5, 2, v5                                // 000000010634: 240A0A82
	ds_write_b64 v5, v[176:177] offset:36864                   // 000000010638: D89A9000 0000B005
	ds_write_b64 v5, v[178:179] offset:39040                   // 000000010640: D89A9880 0000B205
	v_lshrrev_b32_e32 v39, 1, v0                               // 000000010648: 204E0081
	v_mul_i32_i24_e32 v5, 34, v39                              // 00000001064C: 0C0A4EA2
	v_and_b32_e32 v40, 1, v0                                   // 000000010650: 26500081
	v_add_u32_e32 v5, v40, v5                                  // 000000010654: 680A0B28
	s_mul_i32 s60, s7, 2                                       // 000000010658: 923C8207
	v_add_u32_e32 v5, s60, v5                                  // 00000001065C: 680A0A3C
	v_lshlrev_b32_e32 v5, 2, v5                                // 000000010660: 240A0A82
	s_waitcnt lgkmcnt(0)                                       // 000000010664: BF8CC07F
	s_barrier                                                  // 000000010668: BF8A0000
	ds_read_b32 v176, v5 offset:36864                          // 00000001066C: D86C9000 B0000005
	ds_read_b32 v177, v5 offset:36896                          // 000000010674: D86C9020 B1000005
	ds_read_b32 v178, v5 offset:36928                          // 00000001067C: D86C9040 B2000005
	ds_read_b32 v179, v5 offset:36960                          // 000000010684: D86C9060 B3000005
	s_waitcnt lgkmcnt(0)                                       // 00000001068C: BF8CC07F
	buffer_store_dword v176, v8, s[8:11], 0 offen              // 000000010690: E0701000 8002B008
	buffer_store_dword v177, v8, s[8:11], 0 offen offset:1024  // 000000010698: E0701400 8002B108
	s_add_u32 s8, s75, s8                                      // 0000000106A0: 8008084B
	s_addc_u32 s9, 0, s9                                       // 0000000106A4: 82090980
	buffer_store_dword v178, v8, s[8:11], 0 offen              // 0000000106A8: E0701000 8002B208
	buffer_store_dword v179, v8, s[8:11], 0 offen offset:1024  // 0000000106B0: E0701400 8002B308
	s_add_u32 s8, s75, s8                                      // 0000000106B8: 8008084B
	s_addc_u32 s9, 0, s9                                       // 0000000106BC: 82090980
	ds_write_b32 v11, v44                                      // 0000000106C0: D81A0000 00002C0B
	s_waitcnt lgkmcnt(0)                                       // 0000000106C8: BF8CC07F
	s_barrier                                                  // 0000000106CC: BF8A0000
	ds_read_b32 v64, v10                                       // 0000000106D0: D86C0000 4000000A
	ds_read_b32 v65, v10 offset:64                             // 0000000106D8: D86C0040 4100000A
	ds_read_b32 v66, v10 offset:128                            // 0000000106E0: D86C0080 4200000A
	ds_read_b32 v67, v10 offset:192                            // 0000000106E8: D86C00C0 4300000A
	ds_read_b32 v68, v10 offset:256                            // 0000000106F0: D86C0100 4400000A
	ds_read_b32 v69, v10 offset:320                            // 0000000106F8: D86C0140 4500000A
	ds_read_b32 v70, v10 offset:384                            // 000000010700: D86C0180 4600000A
	ds_read_b32 v71, v10 offset:448                            // 000000010708: D86C01C0 4700000A
	ds_read_b32 v72, v10 offset:512                            // 000000010710: D86C0200 4800000A
	ds_read_b32 v73, v10 offset:576                            // 000000010718: D86C0240 4900000A
	ds_read_b32 v74, v10 offset:640                            // 000000010720: D86C0280 4A00000A
	ds_read_b32 v75, v10 offset:704                            // 000000010728: D86C02C0 4B00000A
	ds_read_b32 v76, v10 offset:768                            // 000000010730: D86C0300 4C00000A
	ds_read_b32 v77, v10 offset:832                            // 000000010738: D86C0340 4D00000A
	ds_read_b32 v78, v10 offset:896                            // 000000010740: D86C0380 4E00000A
	ds_read_b32 v79, v10 offset:960                            // 000000010748: D86C03C0 4F00000A
	s_waitcnt lgkmcnt(0)                                       // 000000010750: BF8CC07F
	v_mov_b32_e32 v44, 0                                       // 000000010754: 7E580280
	v_add_f32_e32 v44, v64, v44                                // 000000010758: 02585940
	v_add_f32_e32 v44, v65, v44                                // 00000001075C: 02585941
	v_add_f32_e32 v44, v66, v44                                // 000000010760: 02585942
	v_add_f32_e32 v44, v67, v44                                // 000000010764: 02585943
	;; [unrolled: 1-line block ×3, first 2 shown]
	v_add_f32_e32 v44, v69, v44                                // 00000001076C: 02585945
	v_add_f32_e32 v44, v70, v44                                // 000000010770: 02585946
	v_add_f32_e32 v44, v71, v44                                // 000000010774: 02585947
	v_add_f32_e32 v44, v72, v44                                // 000000010778: 02585948
	v_add_f32_e32 v44, v73, v44                                // 00000001077C: 02585949
	v_add_f32_e32 v44, v74, v44                                // 000000010780: 0258594A
	v_add_f32_e32 v44, v75, v44                                // 000000010784: 0258594B
	v_add_f32_e32 v44, v76, v44                                // 000000010788: 0258594C
	v_add_f32_e32 v44, v77, v44                                // 00000001078C: 0258594D
	v_add_f32_e32 v44, v78, v44                                // 000000010790: 0258594E
	v_add_f32_e32 v44, v79, v44                                // 000000010794: 0258594F
	s_nop 1                                                    // 000000010798: BF800001
	v_rcp_f32_e32 v44, v44                                     // 00000001079C: 7E58452C
	s_nop 1                                                    // 0000000107A0: BF800001
	v_mul_f32_e32 v184, v44, v184                              // 0000000107A4: 0B71712C
	v_mul_f32_e32 v185, v44, v185                              // 0000000107A8: 0B73732C
	v_mul_f32_e32 v186, v44, v186                              // 0000000107AC: 0B75752C
	v_mul_f32_e32 v187, v44, v187                              // 0000000107B0: 0B77772C
	v_mul_f32_e32 v188, v44, v188                              // 0000000107B4: 0B79792C
	v_mul_f32_e32 v189, v44, v189                              // 0000000107B8: 0B7B7B2C
	v_mul_f32_e32 v190, v44, v190                              // 0000000107BC: 0B7D7D2C
	v_mul_f32_e32 v191, v44, v191                              // 0000000107C0: 0B7F7F2C
	v_cmp_u_f32_e64 s[40:41], v184, v184                       // 0000000107C4: D0480028 000371B8
	v_add3_u32 v19, v184, v22, 1                               // 0000000107CC: D1FF0013 02062DB8
	v_cndmask_b32_e64 v39, v19, v21, s[40:41]                  // 0000000107D4: D1000027 00A22B13
	v_cmp_u_f32_e64 s[40:41], v185, v185                       // 0000000107DC: D0480028 000373B9
	v_add3_u32 v19, v185, v22, 1                               // 0000000107E4: D1FF0013 02062DB9
	v_cndmask_b32_e64 v40, v19, v21, s[40:41]                  // 0000000107EC: D1000028 00A22B13
	v_perm_b32 v184, v40, v39, s52                             // 0000000107F4: D1ED00B8 00D24F28
	v_cmp_u_f32_e64 s[40:41], v186, v186                       // 0000000107FC: D0480028 000375BA
	v_add3_u32 v19, v186, v22, 1                               // 000000010804: D1FF0013 02062DBA
	v_cndmask_b32_e64 v39, v19, v21, s[40:41]                  // 00000001080C: D1000027 00A22B13
	v_cmp_u_f32_e64 s[40:41], v187, v187                       // 000000010814: D0480028 000377BB
	v_add3_u32 v19, v187, v22, 1                               // 00000001081C: D1FF0013 02062DBB
	v_cndmask_b32_e64 v40, v19, v21, s[40:41]                  // 000000010824: D1000028 00A22B13
	v_perm_b32 v185, v40, v39, s52                             // 00000001082C: D1ED00B9 00D24F28
	v_cmp_u_f32_e64 s[40:41], v188, v188                       // 000000010834: D0480028 000379BC
	v_add3_u32 v19, v188, v22, 1                               // 00000001083C: D1FF0013 02062DBC
	v_cndmask_b32_e64 v39, v19, v21, s[40:41]                  // 000000010844: D1000027 00A22B13
	v_cmp_u_f32_e64 s[40:41], v189, v189                       // 00000001084C: D0480028 00037BBD
	v_add3_u32 v19, v189, v22, 1                               // 000000010854: D1FF0013 02062DBD
	v_cndmask_b32_e64 v40, v19, v21, s[40:41]                  // 00000001085C: D1000028 00A22B13
	v_perm_b32 v186, v40, v39, s52                             // 000000010864: D1ED00BA 00D24F28
	v_cmp_u_f32_e64 s[40:41], v190, v190                       // 00000001086C: D0480028 00037DBE
	v_add3_u32 v19, v190, v22, 1                               // 000000010874: D1FF0013 02062DBE
	v_cndmask_b32_e64 v39, v19, v21, s[40:41]                  // 00000001087C: D1000027 00A22B13
	v_cmp_u_f32_e64 s[40:41], v191, v191                       // 000000010884: D0480028 00037FBF
	v_add3_u32 v19, v191, v22, 1                               // 00000001088C: D1FF0013 02062DBF
	v_cndmask_b32_e64 v40, v19, v21, s[40:41]                  // 000000010894: D1000028 00A22B13
	v_perm_b32 v187, v40, v39, s52                             // 00000001089C: D1ED00BB 00D24F28
	v_lshrrev_b32_e32 v39, 4, v0                               // 0000000108A4: 204E0084
	v_mul_i32_i24_e32 v5, 34, v39                              // 0000000108A8: 0C0A4EA2
	v_and_b32_e32 v39, 15, v0                                  // 0000000108AC: 264E008F
	v_mul_i32_i24_e32 v40, 2, v39                              // 0000000108B0: 0C504E82
	v_add_u32_e32 v5, v40, v5                                  // 0000000108B4: 680A0B28
	s_mul_i32 s60, s7, 0x88                                    // 0000000108B8: 923CFF07 00000088
	v_add_u32_e32 v5, s60, v5                                  // 0000000108C0: 680A0A3C
	v_lshlrev_b32_e32 v5, 2, v5                                // 0000000108C4: 240A0A82
	ds_write_b64 v5, v[184:185] offset:36864                   // 0000000108C8: D89A9000 0000B805
	ds_write_b64 v5, v[186:187] offset:39040                   // 0000000108D0: D89A9880 0000BA05
	v_lshrrev_b32_e32 v39, 1, v0                               // 0000000108D8: 204E0081
	v_mul_i32_i24_e32 v5, 34, v39                              // 0000000108DC: 0C0A4EA2
	v_and_b32_e32 v40, 1, v0                                   // 0000000108E0: 26500081
	v_add_u32_e32 v5, v40, v5                                  // 0000000108E4: 680A0B28
	s_mul_i32 s60, s7, 2                                       // 0000000108E8: 923C8207
	v_add_u32_e32 v5, s60, v5                                  // 0000000108EC: 680A0A3C
	v_lshlrev_b32_e32 v5, 2, v5                                // 0000000108F0: 240A0A82
	s_waitcnt lgkmcnt(0)                                       // 0000000108F4: BF8CC07F
	s_barrier                                                  // 0000000108F8: BF8A0000
	ds_read_b32 v184, v5 offset:36864                          // 0000000108FC: D86C9000 B8000005
	ds_read_b32 v185, v5 offset:36896                          // 000000010904: D86C9020 B9000005
	ds_read_b32 v186, v5 offset:36928                          // 00000001090C: D86C9040 BA000005
	ds_read_b32 v187, v5 offset:36960                          // 000000010914: D86C9060 BB000005
	s_waitcnt lgkmcnt(0)                                       // 00000001091C: BF8CC07F
	buffer_store_dword v184, v8, s[8:11], 0 offen              // 000000010920: E0701000 8002B808
	buffer_store_dword v185, v8, s[8:11], 0 offen offset:1024  // 000000010928: E0701400 8002B908
	s_add_u32 s8, s75, s8                                      // 000000010930: 8008084B
	s_addc_u32 s9, 0, s9                                       // 000000010934: 82090980
	buffer_store_dword v186, v8, s[8:11], 0 offen              // 000000010938: E0701000 8002BA08
	buffer_store_dword v187, v8, s[8:11], 0 offen offset:1024  // 000000010940: E0701400 8002BB08
	s_add_u32 s8, s75, s8                                      // 000000010948: 8008084B
	s_addc_u32 s9, 0, s9                                       // 00000001094C: 82090980
	s_branch label_3B18                                        // 000000010950: BF820142

0000000000010954 <label_39D6>:
	ds_write_b32 v11, v43                                      // 000000010954: D81A0000 00002B0B
	s_waitcnt lgkmcnt(0)                                       // 00000001095C: BF8CC07F
	s_barrier                                                  // 000000010960: BF8A0000
	ds_read_b32 v64, v10                                       // 000000010964: D86C0000 4000000A
	ds_read_b32 v65, v10 offset:64                             // 00000001096C: D86C0040 4100000A
	ds_read_b32 v66, v10 offset:128                            // 000000010974: D86C0080 4200000A
	ds_read_b32 v67, v10 offset:192                            // 00000001097C: D86C00C0 4300000A
	ds_read_b32 v68, v10 offset:256                            // 000000010984: D86C0100 4400000A
	ds_read_b32 v69, v10 offset:320                            // 00000001098C: D86C0140 4500000A
	ds_read_b32 v70, v10 offset:384                            // 000000010994: D86C0180 4600000A
	ds_read_b32 v71, v10 offset:448                            // 00000001099C: D86C01C0 4700000A
	ds_read_b32 v72, v10 offset:512                            // 0000000109A4: D86C0200 4800000A
	ds_read_b32 v73, v10 offset:576                            // 0000000109AC: D86C0240 4900000A
	ds_read_b32 v74, v10 offset:640                            // 0000000109B4: D86C0280 4A00000A
	ds_read_b32 v75, v10 offset:704                            // 0000000109BC: D86C02C0 4B00000A
	ds_read_b32 v76, v10 offset:768                            // 0000000109C4: D86C0300 4C00000A
	ds_read_b32 v77, v10 offset:832                            // 0000000109CC: D86C0340 4D00000A
	ds_read_b32 v78, v10 offset:896                            // 0000000109D4: D86C0380 4E00000A
	ds_read_b32 v79, v10 offset:960                            // 0000000109DC: D86C03C0 4F00000A
	s_waitcnt lgkmcnt(0)                                       // 0000000109E4: BF8CC07F
	v_mov_b32_e32 v43, 0                                       // 0000000109E8: 7E560280
	v_add_f32_e32 v43, v64, v43                                // 0000000109EC: 02565740
	v_add_f32_e32 v43, v65, v43                                // 0000000109F0: 02565741
	v_add_f32_e32 v43, v66, v43                                // 0000000109F4: 02565742
	v_add_f32_e32 v43, v67, v43                                // 0000000109F8: 02565743
	v_add_f32_e32 v43, v68, v43                                // 0000000109FC: 02565744
	v_add_f32_e32 v43, v69, v43                                // 000000010A00: 02565745
	v_add_f32_e32 v43, v70, v43                                // 000000010A04: 02565746
	v_add_f32_e32 v43, v71, v43                                // 000000010A08: 02565747
	v_add_f32_e32 v43, v72, v43                                // 000000010A0C: 02565748
	v_add_f32_e32 v43, v73, v43                                // 000000010A10: 02565749
	v_add_f32_e32 v43, v74, v43                                // 000000010A14: 0256574A
	v_add_f32_e32 v43, v75, v43                                // 000000010A18: 0256574B
	v_add_f32_e32 v43, v76, v43                                // 000000010A1C: 0256574C
	v_add_f32_e32 v43, v77, v43                                // 000000010A20: 0256574D
	v_add_f32_e32 v43, v78, v43                                // 000000010A24: 0256574E
	v_add_f32_e32 v43, v79, v43                                // 000000010A28: 0256574F
	s_nop 1                                                    // 000000010A2C: BF800001
	v_rcp_f32_e32 v43, v43                                     // 000000010A30: 7E56452B
	s_nop 1                                                    // 000000010A34: BF800001
	v_mul_f32_e32 v176, v43, v176                              // 000000010A38: 0B61612B
	v_mul_f32_e32 v177, v43, v177                              // 000000010A3C: 0B63632B
	v_mul_f32_e32 v178, v43, v178                              // 000000010A40: 0B65652B
	v_mul_f32_e32 v179, v43, v179                              // 000000010A44: 0B67672B
	v_mul_f32_e32 v180, v43, v180                              // 000000010A48: 0B69692B
	v_mul_f32_e32 v181, v43, v181                              // 000000010A4C: 0B6B6B2B
	v_mul_f32_e32 v182, v43, v182                              // 000000010A50: 0B6D6D2B
	v_mul_f32_e32 v183, v43, v183                              // 000000010A54: 0B6F6F2B
	v_cmp_u_f32_e64 s[40:41], v176, v176                       // 000000010A58: D0480028 000361B0
	v_add3_u32 v19, v176, v22, 1                               // 000000010A60: D1FF0013 02062DB0
	v_cndmask_b32_e64 v39, v19, v21, s[40:41]                  // 000000010A68: D1000027 00A22B13
	v_cmp_u_f32_e64 s[40:41], v177, v177                       // 000000010A70: D0480028 000363B1
	v_add3_u32 v19, v177, v22, 1                               // 000000010A78: D1FF0013 02062DB1
	v_cndmask_b32_e64 v40, v19, v21, s[40:41]                  // 000000010A80: D1000028 00A22B13
	v_perm_b32 v176, v40, v39, s52                             // 000000010A88: D1ED00B0 00D24F28
	v_cmp_u_f32_e64 s[40:41], v178, v178                       // 000000010A90: D0480028 000365B2
	v_add3_u32 v19, v178, v22, 1                               // 000000010A98: D1FF0013 02062DB2
	v_cndmask_b32_e64 v39, v19, v21, s[40:41]                  // 000000010AA0: D1000027 00A22B13
	v_cmp_u_f32_e64 s[40:41], v179, v179                       // 000000010AA8: D0480028 000367B3
	v_add3_u32 v19, v179, v22, 1                               // 000000010AB0: D1FF0013 02062DB3
	v_cndmask_b32_e64 v40, v19, v21, s[40:41]                  // 000000010AB8: D1000028 00A22B13
	v_perm_b32 v177, v40, v39, s52                             // 000000010AC0: D1ED00B1 00D24F28
	v_cmp_u_f32_e64 s[40:41], v180, v180                       // 000000010AC8: D0480028 000369B4
	v_add3_u32 v19, v180, v22, 1                               // 000000010AD0: D1FF0013 02062DB4
	v_cndmask_b32_e64 v39, v19, v21, s[40:41]                  // 000000010AD8: D1000027 00A22B13
	v_cmp_u_f32_e64 s[40:41], v181, v181                       // 000000010AE0: D0480028 00036BB5
	v_add3_u32 v19, v181, v22, 1                               // 000000010AE8: D1FF0013 02062DB5
	v_cndmask_b32_e64 v40, v19, v21, s[40:41]                  // 000000010AF0: D1000028 00A22B13
	v_perm_b32 v178, v40, v39, s52                             // 000000010AF8: D1ED00B2 00D24F28
	v_cmp_u_f32_e64 s[40:41], v182, v182                       // 000000010B00: D0480028 00036DB6
	v_add3_u32 v19, v182, v22, 1                               // 000000010B08: D1FF0013 02062DB6
	v_cndmask_b32_e64 v39, v19, v21, s[40:41]                  // 000000010B10: D1000027 00A22B13
	v_cmp_u_f32_e64 s[40:41], v183, v183                       // 000000010B18: D0480028 00036FB7
	v_add3_u32 v19, v183, v22, 1                               // 000000010B20: D1FF0013 02062DB7
	v_cndmask_b32_e64 v40, v19, v21, s[40:41]                  // 000000010B28: D1000028 00A22B13
	v_perm_b32 v179, v40, v39, s52                             // 000000010B30: D1ED00B3 00D24F28
	v_lshrrev_b32_e32 v39, 4, v0                               // 000000010B38: 204E0084
	v_mul_i32_i24_e32 v5, 34, v39                              // 000000010B3C: 0C0A4EA2
	v_and_b32_e32 v39, 15, v0                                  // 000000010B40: 264E008F
	v_mul_i32_i24_e32 v40, 2, v39                              // 000000010B44: 0C504E82
	v_add_u32_e32 v5, v40, v5                                  // 000000010B48: 680A0B28
	s_mul_i32 s60, s7, 0x88                                    // 000000010B4C: 923CFF07 00000088
	v_add_u32_e32 v5, s60, v5                                  // 000000010B54: 680A0A3C
	v_lshlrev_b32_e32 v5, 2, v5                                // 000000010B58: 240A0A82
	ds_write_b64 v5, v[176:177] offset:36864                   // 000000010B5C: D89A9000 0000B005
	ds_write_b64 v5, v[178:179] offset:39040                   // 000000010B64: D89A9880 0000B205
	v_lshrrev_b32_e32 v39, 1, v0                               // 000000010B6C: 204E0081
	v_mul_i32_i24_e32 v5, 34, v39                              // 000000010B70: 0C0A4EA2
	v_and_b32_e32 v40, 1, v0                                   // 000000010B74: 26500081
	v_add_u32_e32 v5, v40, v5                                  // 000000010B78: 680A0B28
	s_mul_i32 s60, s7, 2                                       // 000000010B7C: 923C8207
	v_add_u32_e32 v5, s60, v5                                  // 000000010B80: 680A0A3C
	v_lshlrev_b32_e32 v5, 2, v5                                // 000000010B84: 240A0A82
	s_waitcnt lgkmcnt(0)                                       // 000000010B88: BF8CC07F
	s_barrier                                                  // 000000010B8C: BF8A0000
	ds_read_b32 v176, v5 offset:36864                          // 000000010B90: D86C9000 B0000005
	ds_read_b32 v177, v5 offset:36896                          // 000000010B98: D86C9020 B1000005
	ds_read_b32 v178, v5 offset:36928                          // 000000010BA0: D86C9040 B2000005
	ds_read_b32 v179, v5 offset:36960                          // 000000010BA8: D86C9060 B3000005
	s_waitcnt lgkmcnt(0)                                       // 000000010BB0: BF8CC07F
	buffer_store_dword v176, v8, s[8:11], 0 offen              // 000000010BB4: E0701000 8002B008
	buffer_store_dword v177, v8, s[8:11], 0 offen offset:1024  // 000000010BBC: E0701400 8002B108
	s_add_u32 s8, s75, s8                                      // 000000010BC4: 8008084B
	s_addc_u32 s9, 0, s9                                       // 000000010BC8: 82090980
	buffer_store_dword v178, v8, s[8:11], 0 offen              // 000000010BCC: E0701000 8002B208
	buffer_store_dword v179, v8, s[8:11], 0 offen offset:1024  // 000000010BD4: E0701400 8002B308
	s_add_u32 s8, s75, s8                                      // 000000010BDC: 8008084B
	s_addc_u32 s9, 0, s9                                       // 000000010BE0: 82090980
	ds_write_b32 v11, v44                                      // 000000010BE4: D81A0000 00002C0B
	s_waitcnt lgkmcnt(0)                                       // 000000010BEC: BF8CC07F
	s_barrier                                                  // 000000010BF0: BF8A0000
	ds_read_b32 v64, v10                                       // 000000010BF4: D86C0000 4000000A
	ds_read_b32 v65, v10 offset:64                             // 000000010BFC: D86C0040 4100000A
	ds_read_b32 v66, v10 offset:128                            // 000000010C04: D86C0080 4200000A
	ds_read_b32 v67, v10 offset:192                            // 000000010C0C: D86C00C0 4300000A
	ds_read_b32 v68, v10 offset:256                            // 000000010C14: D86C0100 4400000A
	ds_read_b32 v69, v10 offset:320                            // 000000010C1C: D86C0140 4500000A
	ds_read_b32 v70, v10 offset:384                            // 000000010C24: D86C0180 4600000A
	ds_read_b32 v71, v10 offset:448                            // 000000010C2C: D86C01C0 4700000A
	ds_read_b32 v72, v10 offset:512                            // 000000010C34: D86C0200 4800000A
	ds_read_b32 v73, v10 offset:576                            // 000000010C3C: D86C0240 4900000A
	ds_read_b32 v74, v10 offset:640                            // 000000010C44: D86C0280 4A00000A
	ds_read_b32 v75, v10 offset:704                            // 000000010C4C: D86C02C0 4B00000A
	ds_read_b32 v76, v10 offset:768                            // 000000010C54: D86C0300 4C00000A
	ds_read_b32 v77, v10 offset:832                            // 000000010C5C: D86C0340 4D00000A
	ds_read_b32 v78, v10 offset:896                            // 000000010C64: D86C0380 4E00000A
	ds_read_b32 v79, v10 offset:960                            // 000000010C6C: D86C03C0 4F00000A
	s_waitcnt lgkmcnt(0)                                       // 000000010C74: BF8CC07F
	v_mov_b32_e32 v44, 0                                       // 000000010C78: 7E580280
	v_add_f32_e32 v44, v64, v44                                // 000000010C7C: 02585940
	v_add_f32_e32 v44, v65, v44                                // 000000010C80: 02585941
	v_add_f32_e32 v44, v66, v44                                // 000000010C84: 02585942
	v_add_f32_e32 v44, v67, v44                                // 000000010C88: 02585943
	v_add_f32_e32 v44, v68, v44                                // 000000010C8C: 02585944
	v_add_f32_e32 v44, v69, v44                                // 000000010C90: 02585945
	v_add_f32_e32 v44, v70, v44                                // 000000010C94: 02585946
	v_add_f32_e32 v44, v71, v44                                // 000000010C98: 02585947
	v_add_f32_e32 v44, v72, v44                                // 000000010C9C: 02585948
	v_add_f32_e32 v44, v73, v44                                // 000000010CA0: 02585949
	v_add_f32_e32 v44, v74, v44                                // 000000010CA4: 0258594A
	v_add_f32_e32 v44, v75, v44                                // 000000010CA8: 0258594B
	v_add_f32_e32 v44, v76, v44                                // 000000010CAC: 0258594C
	v_add_f32_e32 v44, v77, v44                                // 000000010CB0: 0258594D
	v_add_f32_e32 v44, v78, v44                                // 000000010CB4: 0258594E
	v_add_f32_e32 v44, v79, v44                                // 000000010CB8: 0258594F
	s_nop 1                                                    // 000000010CBC: BF800001
	v_rcp_f32_e32 v44, v44                                     // 000000010CC0: 7E58452C
	s_nop 1                                                    // 000000010CC4: BF800001
	v_mul_f32_e32 v184, v44, v184                              // 000000010CC8: 0B71712C
	v_mul_f32_e32 v185, v44, v185                              // 000000010CCC: 0B73732C
	v_mul_f32_e32 v186, v44, v186                              // 000000010CD0: 0B75752C
	v_mul_f32_e32 v187, v44, v187                              // 000000010CD4: 0B77772C
	v_mul_f32_e32 v188, v44, v188                              // 000000010CD8: 0B79792C
	v_mul_f32_e32 v189, v44, v189                              // 000000010CDC: 0B7B7B2C
	v_mul_f32_e32 v190, v44, v190                              // 000000010CE0: 0B7D7D2C
	v_mul_f32_e32 v191, v44, v191                              // 000000010CE4: 0B7F7F2C
	v_cmp_u_f32_e64 s[40:41], v184, v184                       // 000000010CE8: D0480028 000371B8
	v_add3_u32 v19, v184, v22, 1                               // 000000010CF0: D1FF0013 02062DB8
	v_cndmask_b32_e64 v39, v19, v21, s[40:41]                  // 000000010CF8: D1000027 00A22B13
	v_cmp_u_f32_e64 s[40:41], v185, v185                       // 000000010D00: D0480028 000373B9
	v_add3_u32 v19, v185, v22, 1                               // 000000010D08: D1FF0013 02062DB9
	v_cndmask_b32_e64 v40, v19, v21, s[40:41]                  // 000000010D10: D1000028 00A22B13
	v_perm_b32 v184, v40, v39, s52                             // 000000010D18: D1ED00B8 00D24F28
	v_cmp_u_f32_e64 s[40:41], v186, v186                       // 000000010D20: D0480028 000375BA
	v_add3_u32 v19, v186, v22, 1                               // 000000010D28: D1FF0013 02062DBA
	v_cndmask_b32_e64 v39, v19, v21, s[40:41]                  // 000000010D30: D1000027 00A22B13
	v_cmp_u_f32_e64 s[40:41], v187, v187                       // 000000010D38: D0480028 000377BB
	v_add3_u32 v19, v187, v22, 1                               // 000000010D40: D1FF0013 02062DBB
	v_cndmask_b32_e64 v40, v19, v21, s[40:41]                  // 000000010D48: D1000028 00A22B13
	v_perm_b32 v185, v40, v39, s52                             // 000000010D50: D1ED00B9 00D24F28
	v_cmp_u_f32_e64 s[40:41], v188, v188                       // 000000010D58: D0480028 000379BC
	v_add3_u32 v19, v188, v22, 1                               // 000000010D60: D1FF0013 02062DBC
	v_cndmask_b32_e64 v39, v19, v21, s[40:41]                  // 000000010D68: D1000027 00A22B13
	v_cmp_u_f32_e64 s[40:41], v189, v189                       // 000000010D70: D0480028 00037BBD
	v_add3_u32 v19, v189, v22, 1                               // 000000010D78: D1FF0013 02062DBD
	v_cndmask_b32_e64 v40, v19, v21, s[40:41]                  // 000000010D80: D1000028 00A22B13
	v_perm_b32 v186, v40, v39, s52                             // 000000010D88: D1ED00BA 00D24F28
	v_cmp_u_f32_e64 s[40:41], v190, v190                       // 000000010D90: D0480028 00037DBE
	v_add3_u32 v19, v190, v22, 1                               // 000000010D98: D1FF0013 02062DBE
	v_cndmask_b32_e64 v39, v19, v21, s[40:41]                  // 000000010DA0: D1000027 00A22B13
	v_cmp_u_f32_e64 s[40:41], v191, v191                       // 000000010DA8: D0480028 00037FBF
	v_add3_u32 v19, v191, v22, 1                               // 000000010DB0: D1FF0013 02062DBF
	v_cndmask_b32_e64 v40, v19, v21, s[40:41]                  // 000000010DB8: D1000028 00A22B13
	v_perm_b32 v187, v40, v39, s52                             // 000000010DC0: D1ED00BB 00D24F28
	v_lshrrev_b32_e32 v39, 4, v0                               // 000000010DC8: 204E0084
	v_mul_i32_i24_e32 v5, 34, v39                              // 000000010DCC: 0C0A4EA2
	v_and_b32_e32 v39, 15, v0                                  // 000000010DD0: 264E008F
	v_mul_i32_i24_e32 v40, 2, v39                              // 000000010DD4: 0C504E82
	v_add_u32_e32 v5, v40, v5                                  // 000000010DD8: 680A0B28
	s_mul_i32 s60, s7, 0x88                                    // 000000010DDC: 923CFF07 00000088
	v_add_u32_e32 v5, s60, v5                                  // 000000010DE4: 680A0A3C
	v_lshlrev_b32_e32 v5, 2, v5                                // 000000010DE8: 240A0A82
	ds_write_b64 v5, v[184:185] offset:36864                   // 000000010DEC: D89A9000 0000B805
	ds_write_b64 v5, v[186:187] offset:39040                   // 000000010DF4: D89A9880 0000BA05
	v_lshrrev_b32_e32 v39, 1, v0                               // 000000010DFC: 204E0081
	v_mul_i32_i24_e32 v5, 34, v39                              // 000000010E00: 0C0A4EA2
	v_and_b32_e32 v40, 1, v0                                   // 000000010E04: 26500081
	v_add_u32_e32 v5, v40, v5                                  // 000000010E08: 680A0B28
	s_mul_i32 s60, s7, 2                                       // 000000010E0C: 923C8207
	v_add_u32_e32 v5, s60, v5                                  // 000000010E10: 680A0A3C
	v_lshlrev_b32_e32 v5, 2, v5                                // 000000010E14: 240A0A82
	s_waitcnt lgkmcnt(0)                                       // 000000010E18: BF8CC07F
	s_barrier                                                  // 000000010E1C: BF8A0000
	ds_read_b32 v184, v5 offset:36864                          // 000000010E20: D86C9000 B8000005
	ds_read_b32 v185, v5 offset:36896                          // 000000010E28: D86C9020 B9000005
	ds_read_b32 v186, v5 offset:36928                          // 000000010E30: D86C9040 BA000005
	ds_read_b32 v187, v5 offset:36960                          // 000000010E38: D86C9060 BB000005
	s_waitcnt lgkmcnt(0)                                       // 000000010E40: BF8CC07F
	buffer_store_dword v184, v8, s[8:11], 0 offen              // 000000010E44: E0701000 8002B808
	buffer_store_dword v185, v8, s[8:11], 0 offen offset:1024  // 000000010E4C: E0701400 8002B908
	s_add_u32 s8, s75, s8                                      // 000000010E54: 8008084B
	s_addc_u32 s9, 0, s9                                       // 000000010E58: 82090980

0000000000010e5c <label_3B18>:
	s_waitcnt vmcnt(0) expcnt(0) lgkmcnt(0)                    // 000000010E5C: BF8C0000
	s_endpgm                                                   // 000000010E60: BF810000
